;; amdgpu-corpus repo=ROCm/rocFFT kind=compiled arch=gfx1030 opt=O3
	.text
	.amdgcn_target "amdgcn-amd-amdhsa--gfx1030"
	.amdhsa_code_object_version 6
	.protected	bluestein_single_fwd_len480_dim1_dp_op_CI_CI ; -- Begin function bluestein_single_fwd_len480_dim1_dp_op_CI_CI
	.globl	bluestein_single_fwd_len480_dim1_dp_op_CI_CI
	.p2align	8
	.type	bluestein_single_fwd_len480_dim1_dp_op_CI_CI,@function
bluestein_single_fwd_len480_dim1_dp_op_CI_CI: ; @bluestein_single_fwd_len480_dim1_dp_op_CI_CI
; %bb.0:
	s_load_dwordx4 s[16:19], s[4:5], 0x28
	v_lshrrev_b32_e32 v46, 4, v0
	v_mov_b32_e32 v129, 0
	s_mov_b64 s[26:27], s[2:3]
	s_mov_b64 s[24:25], s[0:1]
	s_mov_b32 s0, exec_lo
	v_lshl_or_b32 v4, s6, 2, v46
	v_mov_b32_e32 v5, v129
	s_add_u32 s24, s24, s7
	s_addc_u32 s25, s25, 0
	s_waitcnt lgkmcnt(0)
	v_cmpx_gt_u64_e64 s[16:17], v[4:5]
	s_cbranch_execz .LBB0_10
; %bb.1:
	s_clause 0x1
	s_load_dwordx4 s[0:3], s[4:5], 0x18
	s_load_dwordx4 s[12:15], s[4:5], 0x0
	v_and_b32_e32 v212, 15, v0
	v_mov_b32_e32 v5, v4
	v_mul_u32_u24_e32 v242, 0x1e0, v46
	s_mov_b32 s16, 0x134454ff
	s_mov_b32 s17, 0x3fee6f0e
	v_lshlrev_b32_e32 v217, 4, v212
	v_or_b32_e32 v15, 0x120, v212
	v_or_b32_e32 v30, 0x150, v212
	;; [unrolled: 1-line block ×4, first 2 shown]
	v_lshl_or_b32 v213, v242, 4, v217
	s_mov_b32 s21, 0xbfee6f0e
	v_lshlrev_b32_e32 v32, 4, v30
	v_lshlrev_b32_e32 v30, 4, v31
	;; [unrolled: 1-line block ×3, first 2 shown]
	s_mov_b32 s20, s16
	s_waitcnt lgkmcnt(0)
	s_load_dwordx4 s[8:11], s[0:1], 0x0
	buffer_store_dword v5, off, s[24:27], 0 offset:36 ; 4-byte Folded Spill
	buffer_store_dword v6, off, s[24:27], 0 offset:40 ; 4-byte Folded Spill
	s_waitcnt lgkmcnt(0)
	v_mad_u64_u32 v[0:1], null, s10, v4, 0
	v_mad_u64_u32 v[2:3], null, s8, v212, 0
	s_mul_i32 s0, s9, 0x300
	s_mul_hi_u32 s6, s8, 0x300
	s_mul_i32 s1, s8, 0x300
	s_add_i32 s0, s6, s0
	s_mul_i32 s6, s9, 0xffffe600
	v_mad_u64_u32 v[4:5], null, s11, v4, v[1:2]
	s_sub_i32 s6, s6, s8
	v_mad_u64_u32 v[5:6], null, s9, v212, v[3:4]
	v_mov_b32_e32 v1, v4
	v_lshlrev_b64 v[0:1], 4, v[0:1]
	v_mov_b32_e32 v3, v5
	v_add_co_u32 v0, vcc_lo, s18, v0
	v_lshlrev_b64 v[2:3], 4, v[2:3]
	v_add_co_ci_u32_e32 v1, vcc_lo, s19, v1, vcc_lo
	s_mov_b32 s18, 0x9b97f4a8
	s_mov_b32 s19, 0x3fe9e377
	v_add_co_u32 v4, vcc_lo, v0, v2
	v_add_co_ci_u32_e32 v5, vcc_lo, v1, v3, vcc_lo
	global_load_dwordx4 v[93:96], v217, s[12:13]
	global_load_dwordx4 v[0:3], v[4:5], off
	v_add_co_u32 v4, vcc_lo, v4, s1
	v_add_co_ci_u32_e32 v5, vcc_lo, s0, v5, vcc_lo
	v_add_co_u32 v6, vcc_lo, v4, s1
	v_add_co_ci_u32_e32 v7, vcc_lo, s0, v5, vcc_lo
	global_load_dwordx4 v[97:100], v217, s[12:13] offset:768
	global_load_dwordx4 v[16:19], v[4:5], off
	global_load_dwordx4 v[85:88], v217, s[12:13] offset:1536
	global_load_dwordx4 v[8:11], v[6:7], off
	v_or_b32_e32 v4, 0x90, v212
	v_or_b32_e32 v5, 0xc0, v212
	v_lshlrev_b32_e32 v12, 4, v4
	v_add_co_u32 v4, vcc_lo, v6, s1
	v_lshlrev_b32_e32 v14, 4, v5
	v_add_co_ci_u32_e32 v5, vcc_lo, s0, v7, vcc_lo
	buffer_store_dword v12, off, s[24:27], 0 offset:932 ; 4-byte Folded Spill
	global_load_dwordx4 v[89:92], v12, s[12:13]
	v_add_co_u32 v12, vcc_lo, v4, s1
	v_add_co_ci_u32_e32 v13, vcc_lo, s0, v5, vcc_lo
	buffer_store_dword v14, off, s[24:27], 0 offset:924 ; 4-byte Folded Spill
	global_load_dwordx4 v[24:27], v[4:5], off
	global_load_dwordx4 v[57:60], v14, s[12:13]
	global_load_dwordx4 v[4:7], v[12:13], off
	v_or_b32_e32 v14, 0xf0, v212
	v_add_co_u32 v12, vcc_lo, v12, s1
	v_add_co_ci_u32_e32 v13, vcc_lo, s0, v13, vcc_lo
	v_lshlrev_b32_e32 v20, 4, v14
	v_lshlrev_b32_e32 v14, 4, v15
	v_add_co_u32 v28, vcc_lo, v12, s1
	v_add_co_ci_u32_e32 v29, vcc_lo, s0, v13, vcc_lo
	buffer_store_dword v20, off, s[24:27], 0 offset:912 ; 4-byte Folded Spill
	buffer_store_dword v14, off, s[24:27], 0 offset:900 ; 4-byte Folded Spill
	global_load_dwordx4 v[65:68], v20, s[12:13]
	global_load_dwordx4 v[20:23], v[12:13], off
	global_load_dwordx4 v[61:64], v14, s[12:13]
	global_load_dwordx4 v[12:15], v[28:29], off
	v_add_co_u32 v28, vcc_lo, v28, s1
	v_add_co_ci_u32_e32 v29, vcc_lo, s0, v29, vcc_lo
	buffer_store_dword v32, off, s[24:27], 0 offset:896 ; 4-byte Folded Spill
	v_add_co_u32 v36, vcc_lo, v28, s1
	v_add_co_ci_u32_e32 v37, vcc_lo, s0, v29, vcc_lo
	buffer_store_dword v30, off, s[24:27], 0 offset:888 ; 4-byte Folded Spill
	global_load_dwordx4 v[81:84], v32, s[12:13]
	global_load_dwordx4 v[32:35], v[28:29], off
	global_load_dwordx4 v[73:76], v30, s[12:13]
	global_load_dwordx4 v[28:31], v[36:37], off
	v_add_co_u32 v36, vcc_lo, v36, s1
	v_add_co_ci_u32_e32 v37, vcc_lo, s0, v37, vcc_lo
	buffer_store_dword v38, off, s[24:27], 0 offset:892 ; 4-byte Folded Spill
	global_load_dwordx4 v[69:72], v38, s[12:13]
	v_mad_u64_u32 v[44:45], null, 0xffffe600, s8, v[36:37]
	v_add_nc_u32_e32 v45, s6, v45
	global_load_dwordx4 v[36:39], v[36:37], off
	global_load_dwordx4 v[77:80], v217, s[12:13] offset:256
	global_load_dwordx4 v[40:43], v[44:45], off
	v_add_co_u32 v44, vcc_lo, v44, s1
	v_add_co_ci_u32_e32 v45, vcc_lo, s0, v45, vcc_lo
	s_waitcnt vmcnt(20)
	v_mul_f64 v[47:48], v[2:3], v[95:96]
	v_mul_f64 v[49:50], v[0:1], v[95:96]
	s_waitcnt vmcnt(18)
	v_mul_f64 v[51:52], v[18:19], v[99:100]
	v_mul_f64 v[53:54], v[16:17], v[99:100]
	s_waitcnt vmcnt(16)
	v_mul_f64 v[55:56], v[10:11], v[87:88]
	v_fma_f64 v[0:1], v[0:1], v[93:94], v[47:48]
	buffer_store_dword v93, off, s[24:27], 0 offset:188 ; 4-byte Folded Spill
	buffer_store_dword v94, off, s[24:27], 0 offset:192 ; 4-byte Folded Spill
	;; [unrolled: 1-line block ×4, first 2 shown]
	v_mul_f64 v[47:48], v[8:9], v[87:88]
	v_fma_f64 v[16:17], v[16:17], v[97:98], v[51:52]
	buffer_store_dword v97, off, s[24:27], 0 offset:204 ; 4-byte Folded Spill
	buffer_store_dword v98, off, s[24:27], 0 offset:208 ; 4-byte Folded Spill
	;; [unrolled: 1-line block ×4, first 2 shown]
	v_fma_f64 v[8:9], v[8:9], v[85:86], v[55:56]
	buffer_store_dword v85, off, s[24:27], 0 offset:156 ; 4-byte Folded Spill
	buffer_store_dword v86, off, s[24:27], 0 offset:160 ; 4-byte Folded Spill
	;; [unrolled: 1-line block ×4, first 2 shown]
	s_waitcnt vmcnt(14)
	v_mul_f64 v[51:52], v[24:25], v[91:92]
	s_waitcnt vmcnt(10)
	v_mul_f64 v[55:56], v[22:23], v[67:68]
	v_fma_f64 v[2:3], v[2:3], v[93:94], -v[49:50]
	v_mul_f64 v[49:50], v[26:27], v[91:92]
	v_fma_f64 v[18:19], v[18:19], v[97:98], -v[53:54]
	;; [unrolled: 2-line block ×3, first 2 shown]
	v_mul_f64 v[47:48], v[4:5], v[59:60]
	v_fma_f64 v[24:25], v[24:25], v[89:90], v[49:50]
	buffer_store_dword v89, off, s[24:27], 0 offset:172 ; 4-byte Folded Spill
	buffer_store_dword v90, off, s[24:27], 0 offset:176 ; 4-byte Folded Spill
	;; [unrolled: 1-line block ×4, first 2 shown]
	v_mul_f64 v[49:50], v[20:21], v[67:68]
	v_fma_f64 v[20:21], v[20:21], v[65:66], v[55:56]
	s_waitcnt vmcnt(4)
	v_mul_f64 v[55:56], v[30:31], v[75:76]
	v_fma_f64 v[4:5], v[4:5], v[57:58], v[53:54]
	buffer_store_dword v57, off, s[24:27], 0 offset:44 ; 4-byte Folded Spill
	buffer_store_dword v58, off, s[24:27], 0 offset:48 ; 4-byte Folded Spill
	;; [unrolled: 1-line block ×8, first 2 shown]
	v_mul_f64 v[53:54], v[34:35], v[83:84]
	v_fma_f64 v[26:27], v[26:27], v[89:90], -v[51:52]
	v_mul_f64 v[51:52], v[14:15], v[63:64]
	v_fma_f64 v[6:7], v[6:7], v[57:58], -v[47:48]
	;; [unrolled: 2-line block ×3, first 2 shown]
	v_mul_f64 v[49:50], v[32:33], v[83:84]
	v_fma_f64 v[32:33], v[32:33], v[81:82], v[53:54]
	s_waitcnt vmcnt(0)
	v_mul_f64 v[53:54], v[42:43], v[79:80]
	v_fma_f64 v[12:13], v[12:13], v[61:62], v[51:52]
	buffer_store_dword v61, off, s[24:27], 0 offset:60 ; 4-byte Folded Spill
	buffer_store_dword v62, off, s[24:27], 0 offset:64 ; 4-byte Folded Spill
	;; [unrolled: 1-line block ×8, first 2 shown]
	v_mul_f64 v[51:52], v[38:39], v[71:72]
	v_fma_f64 v[14:15], v[14:15], v[61:62], -v[47:48]
	v_mul_f64 v[47:48], v[28:29], v[75:76]
	v_fma_f64 v[28:29], v[28:29], v[73:74], v[55:56]
	buffer_store_dword v73, off, s[24:27], 0 offset:108 ; 4-byte Folded Spill
	buffer_store_dword v74, off, s[24:27], 0 offset:112 ; 4-byte Folded Spill
	;; [unrolled: 1-line block ×4, first 2 shown]
	v_fma_f64 v[34:35], v[34:35], v[81:82], -v[49:50]
	v_mul_f64 v[49:50], v[36:37], v[71:72]
	v_fma_f64 v[36:37], v[36:37], v[69:70], v[51:52]
	buffer_store_dword v69, off, s[24:27], 0 offset:92 ; 4-byte Folded Spill
	buffer_store_dword v70, off, s[24:27], 0 offset:96 ; 4-byte Folded Spill
	;; [unrolled: 1-line block ×4, first 2 shown]
	global_load_dwordx4 v[55:58], v217, s[12:13] offset:1024
	v_fma_f64 v[30:31], v[30:31], v[73:74], -v[47:48]
	v_mul_f64 v[47:48], v[40:41], v[79:80]
	v_fma_f64 v[40:41], v[40:41], v[77:78], v[53:54]
	buffer_store_dword v77, off, s[24:27], 0 offset:124 ; 4-byte Folded Spill
	buffer_store_dword v78, off, s[24:27], 0 offset:128 ; 4-byte Folded Spill
	;; [unrolled: 1-line block ×4, first 2 shown]
	v_fma_f64 v[38:39], v[38:39], v[69:70], -v[49:50]
	v_fma_f64 v[42:43], v[42:43], v[77:78], -v[47:48]
	global_load_dwordx4 v[47:50], v[44:45], off
	v_add_co_u32 v44, vcc_lo, v44, s1
	v_add_co_ci_u32_e32 v45, vcc_lo, s0, v45, vcc_lo
	s_waitcnt vmcnt(0)
	v_mul_f64 v[51:52], v[49:50], v[57:58]
	v_mul_f64 v[53:54], v[47:48], v[57:58]
	v_fma_f64 v[47:48], v[47:48], v[55:56], v[51:52]
	buffer_store_dword v55, off, s[24:27], 0 offset:412 ; 4-byte Folded Spill
	buffer_store_dword v56, off, s[24:27], 0 offset:416 ; 4-byte Folded Spill
	;; [unrolled: 1-line block ×4, first 2 shown]
	v_fma_f64 v[49:50], v[49:50], v[55:56], -v[53:54]
	global_load_dwordx4 v[59:62], v217, s[12:13] offset:1792
	global_load_dwordx4 v[51:54], v[44:45], off
	v_add_co_u32 v44, vcc_lo, v44, s1
	v_add_co_ci_u32_e32 v45, vcc_lo, s0, v45, vcc_lo
	s_waitcnt vmcnt(0)
	v_mul_f64 v[55:56], v[53:54], v[61:62]
	v_mul_f64 v[57:58], v[51:52], v[61:62]
	v_fma_f64 v[51:52], v[51:52], v[59:60], v[55:56]
	buffer_store_dword v59, off, s[24:27], 0 offset:348 ; 4-byte Folded Spill
	buffer_store_dword v60, off, s[24:27], 0 offset:352 ; 4-byte Folded Spill
	buffer_store_dword v61, off, s[24:27], 0 offset:356 ; 4-byte Folded Spill
	buffer_store_dword v62, off, s[24:27], 0 offset:360 ; 4-byte Folded Spill
	v_or_b32_e32 v55, 0xa0, v212
	v_lshlrev_b32_e32 v55, 4, v55
	buffer_store_dword v55, off, s[24:27], 0 offset:964 ; 4-byte Folded Spill
	v_fma_f64 v[53:54], v[53:54], v[59:60], -v[57:58]
	global_load_dwordx4 v[63:66], v55, s[12:13]
	global_load_dwordx4 v[55:58], v[44:45], off
	v_add_co_u32 v44, vcc_lo, v44, s1
	v_add_co_ci_u32_e32 v45, vcc_lo, s0, v45, vcc_lo
	s_waitcnt vmcnt(0)
	v_mul_f64 v[59:60], v[57:58], v[65:66]
	v_mul_f64 v[61:62], v[55:56], v[65:66]
	v_fma_f64 v[55:56], v[55:56], v[63:64], v[59:60]
	buffer_store_dword v63, off, s[24:27], 0 offset:316 ; 4-byte Folded Spill
	buffer_store_dword v64, off, s[24:27], 0 offset:320 ; 4-byte Folded Spill
	buffer_store_dword v65, off, s[24:27], 0 offset:324 ; 4-byte Folded Spill
	buffer_store_dword v66, off, s[24:27], 0 offset:328 ; 4-byte Folded Spill
	v_or_b32_e32 v59, 0xd0, v212
	v_lshlrev_b32_e32 v59, 4, v59
	buffer_store_dword v59, off, s[24:27], 0 offset:960 ; 4-byte Folded Spill
	v_fma_f64 v[57:58], v[57:58], v[63:64], -v[61:62]
	global_load_dwordx4 v[67:70], v59, s[12:13]
	;; [unrolled: 16-line block ×7, first 2 shown]
	global_load_dwordx4 v[79:82], v[44:45], off
	v_mad_u64_u32 v[44:45], null, 0xffffe600, s8, v[44:45]
	v_add_nc_u32_e32 v45, s6, v45
	s_mov_b32 s6, 0x372fe950
	s_mov_b32 s7, 0x3fd3c6ef
	s_waitcnt vmcnt(0)
	v_mul_f64 v[83:84], v[81:82], v[89:90]
	v_mul_f64 v[85:86], v[79:80], v[89:90]
	v_fma_f64 v[79:80], v[79:80], v[87:88], v[83:84]
	buffer_store_dword v87, off, s[24:27], 0 offset:380 ; 4-byte Folded Spill
	buffer_store_dword v88, off, s[24:27], 0 offset:384 ; 4-byte Folded Spill
	;; [unrolled: 1-line block ×4, first 2 shown]
	v_fma_f64 v[81:82], v[81:82], v[87:88], -v[85:86]
	global_load_dwordx4 v[91:94], v217, s[12:13] offset:512
	global_load_dwordx4 v[83:86], v[44:45], off
	v_add_co_u32 v44, vcc_lo, v44, s1
	v_add_co_ci_u32_e32 v45, vcc_lo, s0, v45, vcc_lo
	s_waitcnt vmcnt(0)
	v_mul_f64 v[87:88], v[85:86], v[93:94]
	v_mul_f64 v[89:90], v[83:84], v[93:94]
	v_fma_f64 v[83:84], v[83:84], v[91:92], v[87:88]
	buffer_store_dword v91, off, s[24:27], 0 offset:284 ; 4-byte Folded Spill
	buffer_store_dword v92, off, s[24:27], 0 offset:288 ; 4-byte Folded Spill
	;; [unrolled: 1-line block ×4, first 2 shown]
	v_fma_f64 v[85:86], v[85:86], v[91:92], -v[89:90]
	global_load_dwordx4 v[95:98], v217, s[12:13] offset:1280
	global_load_dwordx4 v[87:90], v[44:45], off
	v_add_co_u32 v44, vcc_lo, v44, s1
	v_add_co_ci_u32_e32 v45, vcc_lo, s0, v45, vcc_lo
	s_waitcnt vmcnt(0)
	v_mul_f64 v[91:92], v[89:90], v[97:98]
	v_mul_f64 v[93:94], v[87:88], v[97:98]
	v_fma_f64 v[87:88], v[87:88], v[95:96], v[91:92]
	buffer_store_dword v95, off, s[24:27], 0 offset:332 ; 4-byte Folded Spill
	buffer_store_dword v96, off, s[24:27], 0 offset:336 ; 4-byte Folded Spill
	buffer_store_dword v97, off, s[24:27], 0 offset:340 ; 4-byte Folded Spill
	buffer_store_dword v98, off, s[24:27], 0 offset:344 ; 4-byte Folded Spill
	v_or_b32_e32 v91, 0x80, v212
	v_lshlrev_b32_e32 v91, 4, v91
	buffer_store_dword v91, off, s[24:27], 0 offset:936 ; 4-byte Folded Spill
	v_fma_f64 v[89:90], v[89:90], v[95:96], -v[93:94]
	global_load_dwordx4 v[99:102], v91, s[12:13]
	global_load_dwordx4 v[91:94], v[44:45], off
	v_add_co_u32 v44, vcc_lo, v44, s1
	v_add_co_ci_u32_e32 v45, vcc_lo, s0, v45, vcc_lo
	s_waitcnt vmcnt(0)
	v_mul_f64 v[95:96], v[93:94], v[101:102]
	v_mul_f64 v[97:98], v[91:92], v[101:102]
	v_fma_f64 v[91:92], v[91:92], v[99:100], v[95:96]
	buffer_store_dword v99, off, s[24:27], 0 offset:236 ; 4-byte Folded Spill
	buffer_store_dword v100, off, s[24:27], 0 offset:240 ; 4-byte Folded Spill
	buffer_store_dword v101, off, s[24:27], 0 offset:244 ; 4-byte Folded Spill
	buffer_store_dword v102, off, s[24:27], 0 offset:248 ; 4-byte Folded Spill
	v_or_b32_e32 v95, 0xb0, v212
	v_lshlrev_b32_e32 v95, 4, v95
	buffer_store_dword v95, off, s[24:27], 0 offset:920 ; 4-byte Folded Spill
	v_fma_f64 v[93:94], v[93:94], v[99:100], -v[97:98]
	global_load_dwordx4 v[103:106], v95, s[12:13]
	;; [unrolled: 16-line block ×7, first 2 shown]
	global_load_dwordx4 v[115:118], v[44:45], off
	v_add_co_u32 v44, vcc_lo, v44, s1
	v_add_co_ci_u32_e32 v45, vcc_lo, s0, v45, vcc_lo
	s_mov_b32 s0, 0x4755a5e
	s_mov_b32 s1, 0x3fe2cf23
	s_waitcnt vmcnt(0)
	v_mul_f64 v[119:120], v[117:118], v[125:126]
	v_mul_f64 v[121:122], v[115:116], v[125:126]
	v_fma_f64 v[115:116], v[115:116], v[123:124], v[119:120]
	buffer_store_dword v123, off, s[24:27], 0 offset:492 ; 4-byte Folded Spill
	buffer_store_dword v124, off, s[24:27], 0 offset:496 ; 4-byte Folded Spill
	;; [unrolled: 1-line block ×4, first 2 shown]
	v_or_b32_e32 v119, 0x1d0, v212
	v_fma_f64 v[117:118], v[117:118], v[123:124], -v[121:122]
	v_lshlrev_b32_e32 v123, 4, v119
	global_load_dwordx4 v[119:122], v[44:45], off
	global_load_dwordx4 v[125:128], v123, s[12:13]
	buffer_store_dword v123, off, s[24:27], 0 offset:880 ; 4-byte Folded Spill
	s_waitcnt vmcnt(0)
	v_mul_f64 v[44:45], v[121:122], v[127:128]
	v_mul_f64 v[123:124], v[119:120], v[127:128]
	v_fma_f64 v[119:120], v[119:120], v[125:126], v[44:45]
	buffer_store_dword v125, off, s[24:27], 0 offset:508 ; 4-byte Folded Spill
	buffer_store_dword v126, off, s[24:27], 0 offset:512 ; 4-byte Folded Spill
	buffer_store_dword v127, off, s[24:27], 0 offset:516 ; 4-byte Folded Spill
	buffer_store_dword v128, off, s[24:27], 0 offset:520 ; 4-byte Folded Spill
	v_or_b32_e32 v44, v242, v212
	v_lshlrev_b32_e32 v128, 4, v44
	ds_write_b128 v128, v[0:3]
	v_fma_f64 v[121:122], v[121:122], v[125:126], -v[123:124]
	ds_write_b128 v213, v[16:19] offset:768
	ds_write_b128 v213, v[8:11] offset:1536
	;; [unrolled: 1-line block ×29, first 2 shown]
	s_load_dwordx4 s[8:11], s[2:3], 0x0
	s_waitcnt lgkmcnt(0)
	s_waitcnt_vscnt null, 0x0
	s_barrier
	buffer_gl0_inv
	ds_read_b128 v[16:19], v213 offset:3072
	ds_read_b128 v[26:29], v213 offset:4608
	ds_read_b128 v[4:7], v128
	ds_read_b128 v[8:11], v213 offset:1536
	ds_read_b128 v[30:33], v213 offset:6144
	s_mov_b32 s3, 0xbfe2cf23
	s_mov_b32 s2, s0
	s_waitcnt lgkmcnt(3)
	v_add_f64 v[0:1], v[16:17], v[26:27]
	s_waitcnt lgkmcnt(1)
	v_add_f64 v[20:21], v[4:5], v[8:9]
	;; [unrolled: 2-line block ×3, first 2 shown]
	v_add_f64 v[34:35], v[6:7], v[10:11]
	v_add_f64 v[14:15], v[10:11], v[32:33]
	v_add_f64 v[40:41], v[8:9], -v[16:17]
	v_add_f64 v[22:23], v[16:17], -v[8:9]
	;; [unrolled: 1-line block ×6, first 2 shown]
	v_fma_f64 v[0:1], v[0:1], -0.5, v[4:5]
	v_add_f64 v[20:21], v[20:21], v[16:17]
	v_fma_f64 v[12:13], v[2:3], -0.5, v[4:5]
	v_add_f64 v[2:3], v[18:19], v[28:29]
	v_add_f64 v[34:35], v[34:35], v[18:19]
	v_fma_f64 v[14:15], v[14:15], -0.5, v[6:7]
	v_add_f64 v[4:5], v[10:11], -v[32:33]
	v_add_f64 v[10:11], v[16:17], -v[26:27]
	v_add_f64 v[16:17], v[20:21], v[26:27]
	v_add_f64 v[26:27], v[26:27], -v[30:31]
	v_fma_f64 v[2:3], v[2:3], -0.5, v[6:7]
	v_add_f64 v[6:7], v[8:9], -v[30:31]
	v_add_f64 v[8:9], v[18:19], -v[28:29]
	v_add_f64 v[18:19], v[34:35], v[28:29]
	v_add_f64 v[28:29], v[28:29], -v[32:33]
	ds_read_b128 v[34:37], v213 offset:3840
	ds_read_b128 v[60:63], v213 offset:5376
	v_add_f64 v[50:51], v[16:17], v[30:31]
	v_add_f64 v[22:23], v[22:23], v[26:27]
	;; [unrolled: 1-line block ×3, first 2 shown]
	ds_read_b128 v[30:33], v213 offset:768
	ds_read_b128 v[64:67], v213 offset:6912
	;; [unrolled: 1-line block ×3, first 2 shown]
	s_waitcnt lgkmcnt(3)
	v_add_f64 v[16:17], v[34:35], v[60:61]
	v_add_f64 v[24:25], v[24:25], v[28:29]
	s_waitcnt lgkmcnt(1)
	v_add_f64 v[92:93], v[66:67], -v[62:63]
	s_waitcnt lgkmcnt(0)
	v_add_f64 v[18:19], v[56:57], v[64:65]
	v_add_f64 v[38:39], v[58:59], v[66:67]
	;; [unrolled: 1-line block ×3, first 2 shown]
	v_fma_f64 v[16:17], v[16:17], -0.5, v[30:31]
	v_add_f64 v[44:45], v[30:31], v[56:57]
	v_add_f64 v[86:87], v[56:57], -v[34:35]
	v_add_f64 v[54:55], v[34:35], -v[56:57]
	;; [unrolled: 1-line block ×4, first 2 shown]
	v_fma_f64 v[20:21], v[18:19], -0.5, v[30:31]
	v_add_f64 v[18:19], v[36:37], v[62:63]
	v_fma_f64 v[38:39], v[38:39], -0.5, v[32:33]
	v_add_f64 v[30:31], v[58:59], -v[66:67]
	v_add_f64 v[44:45], v[44:45], v[34:35]
	v_add_f64 v[34:35], v[34:35], -v[60:61]
	v_fma_f64 v[18:19], v[18:19], -0.5, v[32:33]
	v_add_f64 v[32:33], v[56:57], -v[64:65]
	v_add_f64 v[56:57], v[36:37], -v[58:59]
	v_add_f64 v[58:59], v[68:69], v[36:37]
	v_add_f64 v[36:37], v[36:37], -v[62:63]
	v_add_f64 v[44:45], v[44:45], v[60:61]
	;; [unrolled: 2-line block ×4, first 2 shown]
	v_add_f64 v[26:27], v[54:55], v[60:61]
	v_fma_f64 v[54:55], v[34:35], s[16:17], v[38:39]
	v_add_f64 v[96:97], v[58:59], v[66:67]
	ds_read_b128 v[66:69], v213 offset:3328
	ds_read_b128 v[70:73], v213 offset:4864
	;; [unrolled: 1-line block ×5, first 2 shown]
	v_add_f64 v[28:29], v[56:57], v[62:63]
	v_fma_f64 v[54:55], v[32:33], s[2:3], v[54:55]
	v_fma_f64 v[56:57], v[36:37], s[20:21], v[20:21]
	;; [unrolled: 1-line block ×3, first 2 shown]
	s_waitcnt lgkmcnt(3)
	v_add_f64 v[44:45], v[66:67], v[70:71]
	s_waitcnt lgkmcnt(1)
	v_add_f64 v[100:101], v[66:67], -v[78:79]
	s_waitcnt lgkmcnt(0)
	v_add_f64 v[58:59], v[78:79], v[82:83]
	v_add_f64 v[98:99], v[80:81], v[84:85]
	v_add_f64 v[104:105], v[80:81], -v[68:69]
	v_add_f64 v[106:107], v[68:69], -v[80:81]
	v_add_f64 v[114:115], v[68:69], -v[72:73]
	v_add_f64 v[116:117], v[66:67], -v[70:71]
	v_add_f64 v[108:109], v[82:83], -v[70:71]
	v_add_f64 v[118:119], v[70:71], -v[82:83]
	v_add_f64 v[120:121], v[84:85], -v[72:73]
	v_add_f64 v[122:123], v[72:73], -v[84:85]
	v_add_f64 v[112:113], v[78:79], -v[82:83]
	v_add_f64 v[110:111], v[80:81], -v[84:85]
	v_fma_f64 v[56:57], v[30:31], s[0:1], v[56:57]
	v_fma_f64 v[54:55], v[28:29], s[6:7], v[54:55]
	v_fma_f64 v[20:21], v[30:31], s[2:3], v[20:21]
	v_fma_f64 v[44:45], v[44:45], -0.5, v[74:75]
	v_fma_f64 v[64:65], v[58:59], -0.5, v[74:75]
	v_add_f64 v[58:59], v[68:69], v[72:73]
	v_fma_f64 v[102:103], v[98:99], -0.5, v[76:77]
	v_add_f64 v[74:75], v[74:75], v[78:79]
	v_add_f64 v[98:99], v[78:79], -v[66:67]
	v_fma_f64 v[56:57], v[26:27], s[6:7], v[56:57]
	v_mul_f64 v[60:61], v[54:55], s[16:17]
	v_fma_f64 v[20:21], v[26:27], s[6:7], v[20:21]
	v_fma_f64 v[58:59], v[58:59], -0.5, v[76:77]
	v_add_f64 v[76:77], v[76:77], v[80:81]
	v_add_f64 v[74:75], v[74:75], v[66:67]
	v_fma_f64 v[60:61], v[56:57], s[6:7], v[60:61]
	v_mul_f64 v[56:57], v[56:57], s[20:21]
	v_add_f64 v[76:77], v[76:77], v[68:69]
	v_add_f64 v[66:67], v[74:75], v[70:71]
	v_fma_f64 v[62:63], v[54:55], s[6:7], v[56:57]
	v_fma_f64 v[54:55], v[8:9], s[20:21], v[12:13]
	;; [unrolled: 1-line block ×5, first 2 shown]
	v_add_f64 v[68:69], v[76:77], v[72:73]
	v_add_f64 v[124:125], v[66:67], v[82:83]
	v_fma_f64 v[54:55], v[4:5], s[0:1], v[54:55]
	v_fma_f64 v[12:13], v[4:5], s[2:3], v[12:13]
	;; [unrolled: 1-line block ×4, first 2 shown]
	v_add_f64 v[126:127], v[68:69], v[84:85]
	ds_read_b128 v[66:69], v213 offset:5632
	ds_read_b128 v[70:73], v213 offset:4096
	;; [unrolled: 1-line block ×3, first 2 shown]
	v_fma_f64 v[12:13], v[22:23], s[6:7], v[12:13]
	v_fma_f64 v[14:15], v[24:25], s[6:7], v[14:15]
	s_waitcnt lgkmcnt(1)
	v_add_f64 v[78:79], v[70:71], v[66:67]
	v_add_f64 v[134:135], v[72:73], v[68:69]
	v_add_f64 v[150:151], v[72:73], -v[68:69]
	v_add_f64 v[152:153], v[70:71], -v[66:67]
	s_waitcnt lgkmcnt(0)
	v_fma_f64 v[130:131], v[78:79], -0.5, v[74:75]
	ds_read_b128 v[78:81], v213 offset:7168
	ds_read_b128 v[82:85], v213 offset:2560
	v_fma_f64 v[134:135], v[134:135], -0.5, v[76:77]
	s_waitcnt lgkmcnt(1)
	v_add_f64 v[154:155], v[78:79], -v[66:67]
	s_waitcnt lgkmcnt(0)
	v_add_f64 v[132:133], v[82:83], v[78:79]
	v_add_f64 v[136:137], v[84:85], v[80:81]
	v_add_f64 v[140:141], v[82:83], -v[70:71]
	v_add_f64 v[142:143], v[70:71], -v[82:83]
	;; [unrolled: 1-line block ×9, first 2 shown]
	v_fma_f64 v[132:133], v[132:133], -0.5, v[74:75]
	v_fma_f64 v[136:137], v[136:137], -0.5, v[76:77]
	v_add_f64 v[74:75], v[74:75], v[82:83]
	v_add_f64 v[76:77], v[76:77], v[84:85]
	v_fma_f64 v[26:27], v[150:151], s[20:21], v[132:133]
	v_add_f64 v[74:75], v[74:75], v[70:71]
	v_add_f64 v[76:77], v[76:77], v[72:73]
	v_fma_f64 v[26:27], v[138:139], s[0:1], v[26:27]
	v_add_f64 v[70:71], v[74:75], v[66:67]
	v_add_f64 v[72:73], v[76:77], v[68:69]
	;; [unrolled: 1-line block ×4, first 2 shown]
	ds_read_b128 v[66:69], v213 offset:2048
	ds_read_b128 v[70:73], v213 offset:512
	;; [unrolled: 1-line block ×3, first 2 shown]
	s_waitcnt lgkmcnt(1)
	v_add_f64 v[78:79], v[70:71], v[66:67]
	s_waitcnt lgkmcnt(0)
	v_add_f64 v[170:171], v[66:67], -v[74:75]
	v_add_f64 v[172:173], v[74:75], -v[66:67]
	;; [unrolled: 1-line block ×4, first 2 shown]
	v_add_f64 v[82:83], v[78:79], v[74:75]
	v_add_f64 v[78:79], v[72:73], v[68:69]
	;; [unrolled: 1-line block ×3, first 2 shown]
	ds_read_b128 v[78:81], v213 offset:5120
	s_waitcnt lgkmcnt(0)
	v_add_f64 v[166:167], v[74:75], v[78:79]
	v_add_f64 v[168:169], v[76:77], -v[80:81]
	v_add_f64 v[174:175], v[76:77], v[80:81]
	v_add_f64 v[176:177], v[74:75], -v[78:79]
	ds_read_b128 v[74:77], v213 offset:6656
	s_waitcnt lgkmcnt(0)
	v_add_f64 v[182:183], v[68:69], -v[76:77]
	v_add_f64 v[184:185], v[66:67], v[74:75]
	v_add_f64 v[186:187], v[66:67], -v[74:75]
	v_add_f64 v[188:189], v[68:69], v[76:77]
	v_add_f64 v[66:67], v[82:83], v[78:79]
	;; [unrolled: 1-line block ×3, first 2 shown]
	v_add_f64 v[190:191], v[74:75], -v[78:79]
	v_add_f64 v[192:193], v[78:79], -v[74:75]
	;; [unrolled: 1-line block ×4, first 2 shown]
	v_add_f64 v[198:199], v[66:67], v[74:75]
	v_add_f64 v[200:201], v[68:69], v[76:77]
	ds_read_b128 v[66:69], v213 offset:1280
	ds_read_b128 v[74:77], v213 offset:2816
	;; [unrolled: 1-line block ×3, first 2 shown]
	s_waitcnt lgkmcnt(1)
	v_add_f64 v[82:83], v[66:67], v[74:75]
	s_waitcnt lgkmcnt(0)
	v_add_f64 v[210:211], v[74:75], -v[78:79]
	v_add_f64 v[214:215], v[78:79], -v[74:75]
	;; [unrolled: 1-line block ×4, first 2 shown]
	v_add_f64 v[202:203], v[82:83], v[78:79]
	v_add_f64 v[82:83], v[68:69], v[76:77]
	;; [unrolled: 1-line block ×3, first 2 shown]
	ds_read_b128 v[82:85], v213 offset:5888
	s_waitcnt lgkmcnt(0)
	v_add_f64 v[206:207], v[78:79], v[82:83]
	v_add_f64 v[208:209], v[80:81], -v[84:85]
	v_add_f64 v[218:219], v[80:81], v[84:85]
	v_add_f64 v[220:221], v[78:79], -v[82:83]
	ds_read_b128 v[78:81], v213 offset:7424
	s_waitcnt lgkmcnt(0)
	s_barrier
	buffer_gl0_inv
	v_add_f64 v[228:229], v[74:75], v[78:79]
	v_add_f64 v[230:231], v[74:75], -v[78:79]
	v_add_f64 v[74:75], v[202:203], v[82:83]
	v_add_f64 v[226:227], v[76:77], -v[80:81]
	v_add_f64 v[232:233], v[76:77], v[80:81]
	v_add_f64 v[76:77], v[204:205], v[84:85]
	v_add_f64 v[202:203], v[78:79], -v[82:83]
	v_add_f64 v[204:205], v[82:83], -v[78:79]
	;; [unrolled: 1-line block ×6, first 2 shown]
	v_add_f64 v[238:239], v[74:75], v[78:79]
	v_add_f64 v[74:75], v[50:51], v[94:95]
	v_add_f64 v[50:51], v[50:51], -v[94:95]
	v_add_f64 v[94:95], v[40:41], v[46:47]
	v_fma_f64 v[40:41], v[30:31], s[16:17], v[16:17]
	v_add_f64 v[240:241], v[76:77], v[80:81]
	v_add_f64 v[76:77], v[52:53], v[96:97]
	v_add_f64 v[52:53], v[52:53], -v[96:97]
	v_add_f64 v[78:79], v[124:125], v[162:163]
	v_add_f64 v[96:97], v[42:43], v[48:49]
	;; [unrolled: 1-line block ×3, first 2 shown]
	v_fma_f64 v[42:43], v[32:33], s[20:21], v[18:19]
	v_add_f64 v[80:81], v[126:127], v[164:165]
	v_add_f64 v[126:127], v[88:89], v[92:93]
	v_fma_f64 v[40:41], v[36:37], s[0:1], v[40:41]
	v_fma_f64 v[42:43], v[34:35], s[2:3], v[42:43]
	;; [unrolled: 1-line block ×4, first 2 shown]
	v_mul_f64 v[46:47], v[40:41], s[18:19]
	v_mul_f64 v[40:41], v[40:41], s[2:3]
	v_fma_f64 v[46:47], v[42:43], s[0:1], v[46:47]
	v_fma_f64 v[48:49], v[42:43], s[18:19], v[40:41]
	;; [unrolled: 1-line block ×19, first 2 shown]
	v_add_f64 v[126:127], v[178:179], v[194:195]
	v_add_f64 v[40:41], v[86:87], v[46:47]
	v_add_f64 v[46:47], v[86:87], -v[46:47]
	v_fma_f64 v[86:87], v[22:23], s[6:7], v[54:55]
	v_fma_f64 v[22:23], v[34:35], s[20:21], v[38:39]
	v_add_f64 v[42:43], v[88:89], v[48:49]
	v_add_f64 v[48:49], v[88:89], -v[48:49]
	v_fma_f64 v[88:89], v[24:25], s[6:7], v[56:57]
	v_mul_f64 v[24:25], v[20:21], s[6:7]
	v_add_f64 v[54:55], v[86:87], v[60:61]
	v_fma_f64 v[22:23], v[32:33], s[0:1], v[22:23]
	v_add_f64 v[60:61], v[86:87], -v[60:61]
	v_add_f64 v[56:57], v[88:89], v[62:63]
	v_add_f64 v[62:63], v[88:89], -v[62:63]
	v_fma_f64 v[22:23], v[28:29], s[6:7], v[22:23]
	v_fma_f64 v[24:25], v[22:23], s[16:17], -v[24:25]
	v_mul_f64 v[22:23], v[22:23], s[6:7]
	v_add_f64 v[86:87], v[12:13], v[24:25]
	v_add_f64 v[90:91], v[12:13], -v[24:25]
	v_fma_f64 v[12:13], v[30:31], s[20:21], v[16:17]
	v_fma_f64 v[16:17], v[138:139], s[16:17], v[130:131]
	v_fma_f64 v[20:21], v[20:21], s[20:21], -v[22:23]
	v_fma_f64 v[22:23], v[112:113], s[20:21], v[58:59]
	v_fma_f64 v[24:25], v[152:153], s[16:17], v[136:137]
	;; [unrolled: 1-line block ×4, first 2 shown]
	v_add_f64 v[12:13], v[140:141], v[154:155]
	v_fma_f64 v[16:17], v[150:151], s[0:1], v[16:17]
	v_add_f64 v[88:89], v[14:15], v[20:21]
	v_add_f64 v[92:93], v[14:15], -v[20:21]
	v_add_f64 v[14:15], v[146:147], v[158:159]
	v_fma_f64 v[22:23], v[116:117], s[2:3], v[22:23]
	v_fma_f64 v[24:25], v[144:145], s[2:3], v[24:25]
	;; [unrolled: 1-line block ×4, first 2 shown]
	v_add_f64 v[124:125], v[180:181], v[196:197]
	v_fma_f64 v[16:17], v[12:13], s[6:7], v[16:17]
	v_fma_f64 v[18:19], v[14:15], s[6:7], v[18:19]
	v_mul_f64 v[8:9], v[6:7], s[18:19]
	v_mul_f64 v[20:21], v[16:17], s[18:19]
	;; [unrolled: 1-line block ×3, first 2 shown]
	v_fma_f64 v[8:9], v[4:5], s[0:1], -v[8:9]
	v_mul_f64 v[4:5], v[4:5], s[18:19]
	v_fma_f64 v[20:21], v[18:19], s[0:1], v[20:21]
	v_fma_f64 v[16:17], v[18:19], s[18:19], v[16:17]
	v_fma_f64 v[18:19], v[110:111], s[16:17], v[44:45]
	v_fma_f64 v[10:11], v[6:7], s[2:3], -v[4:5]
	v_add_f64 v[4:5], v[0:1], v[8:9]
	v_add_f64 v[8:9], v[0:1], -v[8:9]
	v_add_f64 v[0:1], v[98:99], v[108:109]
	v_fma_f64 v[18:19], v[114:115], s[0:1], v[18:19]
	v_add_f64 v[6:7], v[2:3], v[10:11]
	v_add_f64 v[10:11], v[2:3], -v[10:11]
	v_add_f64 v[2:3], v[104:105], v[120:121]
	v_fma_f64 v[18:19], v[0:1], s[6:7], v[18:19]
	v_fma_f64 v[22:23], v[2:3], s[6:7], v[22:23]
	v_add_f64 v[32:33], v[18:19], v[20:21]
	v_add_f64 v[36:37], v[18:19], -v[20:21]
	v_add_f64 v[20:21], v[142:143], v[156:157]
	v_add_f64 v[18:19], v[106:107], v[122:123]
	;; [unrolled: 1-line block ×4, first 2 shown]
	v_add_f64 v[38:39], v[22:23], -v[16:17]
	v_add_f64 v[22:23], v[148:149], v[160:161]
	v_add_f64 v[16:17], v[100:101], v[118:119]
	v_fma_f64 v[26:27], v[20:21], s[6:7], v[26:27]
	v_fma_f64 v[30:31], v[18:19], s[6:7], v[30:31]
	;; [unrolled: 1-line block ×3, first 2 shown]
	v_mul_f64 v[28:29], v[24:25], s[16:17]
	v_fma_f64 v[28:29], v[26:27], s[6:7], v[28:29]
	v_mul_f64 v[26:27], v[26:27], s[20:21]
	v_fma_f64 v[24:25], v[24:25], s[6:7], v[26:27]
	v_fma_f64 v[26:27], v[114:115], s[20:21], v[64:65]
	v_add_f64 v[96:97], v[30:31], v[24:25]
	v_add_f64 v[100:101], v[30:31], -v[24:25]
	v_fma_f64 v[24:25], v[114:115], s[16:17], v[64:65]
	v_fma_f64 v[26:27], v[110:111], s[0:1], v[26:27]
	v_fma_f64 v[30:31], v[206:207], -0.5, v[66:67]
	v_add_f64 v[64:65], v[198:199], v[238:239]
	v_fma_f64 v[24:25], v[110:111], s[2:3], v[24:25]
	v_fma_f64 v[26:27], v[16:17], s[6:7], v[26:27]
	;; [unrolled: 1-line block ×4, first 2 shown]
	v_add_f64 v[94:95], v[26:27], v[28:29]
	v_add_f64 v[98:99], v[26:27], -v[28:29]
	v_fma_f64 v[28:29], v[174:175], -0.5, v[72:73]
	v_fma_f64 v[26:27], v[228:229], -0.5, v[66:67]
	v_add_f64 v[66:67], v[200:201], v[240:241]
	v_fma_f64 v[24:25], v[112:113], s[0:1], v[24:25]
	v_fma_f64 v[18:19], v[18:19], s[6:7], v[24:25]
	;; [unrolled: 1-line block ×3, first 2 shown]
	v_add_f64 v[132:133], v[222:223], v[234:235]
	v_fma_f64 v[24:25], v[138:139], s[2:3], v[24:25]
	v_fma_f64 v[20:21], v[20:21], s[6:7], v[24:25]
	;; [unrolled: 1-line block ×3, first 2 shown]
	v_add_f64 v[136:137], v[224:225], v[236:237]
	v_fma_f64 v[24:25], v[144:145], s[0:1], v[24:25]
	v_fma_f64 v[22:23], v[22:23], s[6:7], v[24:25]
	v_mul_f64 v[24:25], v[20:21], s[6:7]
	v_fma_f64 v[24:25], v[22:23], s[16:17], -v[24:25]
	v_mul_f64 v[22:23], v[22:23], s[6:7]
	v_add_f64 v[102:103], v[16:17], v[24:25]
	v_add_f64 v[106:107], v[16:17], -v[24:25]
	v_fma_f64 v[16:17], v[138:139], s[20:21], v[130:131]
	v_fma_f64 v[20:21], v[20:21], s[20:21], -v[22:23]
	v_fma_f64 v[22:23], v[144:145], s[16:17], v[134:135]
	v_add_f64 v[130:131], v[210:211], v[202:203]
	v_fma_f64 v[24:25], v[188:189], -0.5, v[72:73]
	v_add_f64 v[72:73], v[170:171], v[190:191]
	v_add_f64 v[134:135], v[214:215], v[204:205]
	v_fma_f64 v[16:17], v[150:151], s[2:3], v[16:17]
	v_add_f64 v[104:105], v[18:19], v[20:21]
	v_add_f64 v[108:109], v[18:19], -v[20:21]
	v_fma_f64 v[18:19], v[110:111], s[20:21], v[44:45]
	v_fma_f64 v[22:23], v[152:153], s[0:1], v[22:23]
	v_fma_f64 v[44:45], v[218:219], -0.5, v[68:69]
	v_fma_f64 v[20:21], v[112:113], s[16:17], v[58:59]
	v_fma_f64 v[58:59], v[232:233], -0.5, v[68:69]
	v_fma_f64 v[12:13], v[12:13], s[6:7], v[16:17]
	v_fma_f64 v[18:19], v[114:115], s[2:3], v[18:19]
	;; [unrolled: 1-line block ×6, first 2 shown]
	v_mul_f64 v[16:17], v[12:13], s[18:19]
	v_fma_f64 v[0:1], v[0:1], s[6:7], v[18:19]
	v_fma_f64 v[18:19], v[230:231], s[20:21], v[44:45]
	;; [unrolled: 1-line block ×5, first 2 shown]
	v_fma_f64 v[16:17], v[14:15], s[0:1], -v[16:17]
	v_mul_f64 v[14:15], v[14:15], s[18:19]
	v_fma_f64 v[18:19], v[220:221], s[2:3], v[18:19]
	v_fma_f64 v[22:23], v[126:127], s[6:7], v[22:23]
	v_add_f64 v[110:111], v[0:1], v[16:17]
	v_add_f64 v[114:115], v[0:1], -v[16:17]
	v_fma_f64 v[16:17], v[226:227], s[16:17], v[30:31]
	v_fma_f64 v[0:1], v[166:167], -0.5, v[70:71]
	v_fma_f64 v[18:19], v[132:133], s[6:7], v[18:19]
	v_fma_f64 v[12:13], v[12:13], s[2:3], -v[14:15]
	v_add_f64 v[14:15], v[200:201], -v[240:241]
	v_fma_f64 v[16:17], v[208:209], s[0:1], v[16:17]
	v_add_f64 v[112:113], v[2:3], v[12:13]
	v_add_f64 v[116:117], v[2:3], -v[12:13]
	v_fma_f64 v[2:3], v[184:185], -0.5, v[70:71]
	v_add_f64 v[12:13], v[198:199], -v[238:239]
	v_fma_f64 v[16:17], v[130:131], s[6:7], v[16:17]
	v_mul_f64 v[20:21], v[16:17], s[18:19]
	v_mul_f64 v[16:17], v[16:17], s[2:3]
	v_fma_f64 v[20:21], v[18:19], s[0:1], v[20:21]
	v_fma_f64 v[18:19], v[18:19], s[18:19], v[16:17]
	;; [unrolled: 1-line block ×4, first 2 shown]
	v_add_f64 v[70:71], v[22:23], v[18:19]
	v_fma_f64 v[16:17], v[168:169], s[0:1], v[16:17]
	v_add_f64 v[18:19], v[22:23], -v[18:19]
	v_fma_f64 v[22:23], v[208:209], s[20:21], v[26:27]
	v_fma_f64 v[0:1], v[168:169], s[2:3], v[0:1]
	;; [unrolled: 1-line block ×4, first 2 shown]
	v_add_f64 v[68:69], v[16:17], v[20:21]
	v_add_f64 v[16:17], v[16:17], -v[20:21]
	v_fma_f64 v[20:21], v[220:221], s[16:17], v[58:59]
	v_fma_f64 v[22:23], v[134:135], s[6:7], v[22:23]
	v_fma_f64 v[20:21], v[230:231], s[2:3], v[20:21]
	v_fma_f64 v[20:21], v[136:137], s[6:7], v[20:21]
	v_mul_f64 v[118:119], v[20:21], s[16:17]
	v_fma_f64 v[138:139], v[22:23], s[6:7], v[118:119]
	v_mul_f64 v[22:23], v[22:23], s[20:21]
	v_fma_f64 v[118:119], v[176:177], s[16:17], v[24:25]
	v_fma_f64 v[24:25], v[176:177], s[20:21], v[24:25]
	;; [unrolled: 1-line block ×11, first 2 shown]
	v_add_f64 v[120:121], v[140:141], v[22:23]
	v_add_f64 v[22:23], v[140:141], -v[22:23]
	v_fma_f64 v[2:3], v[122:123], s[6:7], v[2:3]
	v_add_f64 v[118:119], v[20:21], v[138:139]
	v_add_f64 v[20:21], v[20:21], -v[138:139]
	v_fma_f64 v[138:139], v[124:125], s[6:7], v[24:25]
	v_fma_f64 v[24:25], v[208:209], s[16:17], v[26:27]
	;; [unrolled: 1-line block ×7, first 2 shown]
	v_mul_f64 v[58:59], v[24:25], s[6:7]
	v_fma_f64 v[58:59], v[26:27], s[16:17], -v[58:59]
	v_mul_f64 v[26:27], v[26:27], s[6:7]
	v_add_f64 v[122:123], v[2:3], v[58:59]
	v_fma_f64 v[26:27], v[24:25], s[20:21], -v[26:27]
	v_add_f64 v[24:25], v[2:3], -v[58:59]
	v_fma_f64 v[2:3], v[226:227], s[20:21], v[30:31]
	v_fma_f64 v[30:31], v[230:231], s[16:17], v[44:45]
	;; [unrolled: 1-line block ×4, first 2 shown]
	v_mov_b32_e32 v231, v128
	v_or_b32_e32 v128, 48, v212
	v_cmp_gt_u64_e32 vcc_lo, 60, v[128:129]
	v_add_f64 v[124:125], v[138:139], v[26:27]
	v_add_f64 v[26:27], v[138:139], -v[26:27]
	v_fma_f64 v[2:3], v[208:209], s[2:3], v[2:3]
	v_fma_f64 v[30:31], v[220:221], s[0:1], v[30:31]
	;; [unrolled: 1-line block ×4, first 2 shown]
	v_or_b32_e32 v133, 16, v212
	v_or_b32_e32 v132, 32, v212
	v_mul_f64 v[28:29], v[2:3], s[18:19]
	v_fma_f64 v[28:29], v[0:1], s[0:1], -v[28:29]
	v_mul_f64 v[0:1], v[0:1], s[18:19]
	v_fma_f64 v[30:31], v[2:3], s[2:3], -v[0:1]
	v_add_f64 v[0:1], v[44:45], v[28:29]
	v_add_f64 v[28:29], v[44:45], -v[28:29]
	v_mul_u32_u24_e32 v44, 10, v212
	s_load_dwordx2 s[2:3], s[4:5], 0x38
	v_add_lshl_u32 v216, v242, v44, 4
	ds_write_b128 v216, v[74:77]
	ds_write_b128 v216, v[40:43] offset:16
	ds_write_b128 v216, v[54:57] offset:32
	;; [unrolled: 1-line block ×9, first 2 shown]
	v_mul_u32_u24_e32 v4, 10, v133
                                        ; implicit-def: $vgpr56_vgpr57
	v_add_lshl_u32 v214, v242, v4, 4
	v_mul_u32_u24_e32 v4, 10, v132
	ds_write_b128 v214, v[78:81]
	ds_write_b128 v214, v[32:35] offset:16
	ds_write_b128 v214, v[94:97] offset:32
	ds_write_b128 v214, v[102:105] offset:48
	ds_write_b128 v214, v[110:113] offset:64
	ds_write_b128 v214, v[82:85] offset:80
	ds_write_b128 v214, v[36:39] offset:96
	ds_write_b128 v214, v[98:101] offset:112
	ds_write_b128 v214, v[106:109] offset:128
	ds_write_b128 v214, v[114:117] offset:144
	v_add_f64 v[2:3], v[58:59], v[30:31]
	v_add_f64 v[30:31], v[58:59], -v[30:31]
	v_add_lshl_u32 v215, v242, v4, 4
	buffer_store_dword v242, off, s[24:27], 0 ; 4-byte Folded Spill
	ds_write_b128 v215, v[64:67]
	ds_write_b128 v215, v[68:71] offset:16
	ds_write_b128 v215, v[118:121] offset:32
	;; [unrolled: 1-line block ×9, first 2 shown]
	s_waitcnt lgkmcnt(0)
	s_waitcnt_vscnt null, 0x0
	s_barrier
	buffer_gl0_inv
	ds_read_b128 v[32:35], v231
	ds_read_b128 v[8:11], v213 offset:256
	ds_read_b128 v[116:119], v213 offset:1920
	;; [unrolled: 1-line block ×23, first 2 shown]
                                        ; implicit-def: $vgpr64_vgpr65
	s_and_saveexec_b32 s0, vcc_lo
	s_cbranch_execz .LBB0_3
; %bb.2:
	ds_read_b128 v[0:3], v213 offset:768
	ds_read_b128 v[12:15], v213 offset:1728
	;; [unrolled: 1-line block ×8, first 2 shown]
.LBB0_3:
	s_or_b32 exec_lo, exec_lo, s0
	v_cmp_gt_u32_e64 s0, 10, v212
	v_add_nc_u32_e32 v129, -10, v212
	s_mov_b32 s4, 0x667f3bcd
	s_mov_b32 s5, 0xbfe6a09e
	;; [unrolled: 1-line block ×4, first 2 shown]
	v_cndmask_b32_e64 v131, v129, v212, s0
	v_mul_i32_i24_e32 v129, 0x70, v131
	v_mul_hi_i32_i24_e32 v130, 0x70, v131
	v_add_co_u32 v134, s0, s14, v129
	v_add_co_ci_u32_e64 v135, s0, s15, v130, s0
	v_cmp_lt_u32_e64 s0, 9, v212
	global_load_dwordx4 v[136:139], v[134:135], off
	s_waitcnt vmcnt(0) lgkmcnt(15)
	v_mul_f64 v[129:130], v[126:127], v[138:139]
	v_fma_f64 v[129:130], v[124:125], v[136:137], -v[129:130]
	v_mul_f64 v[124:125], v[124:125], v[138:139]
	buffer_store_dword v136, off, s[24:27], 0 offset:532 ; 4-byte Folded Spill
	buffer_store_dword v137, off, s[24:27], 0 offset:536 ; 4-byte Folded Spill
	;; [unrolled: 1-line block ×4, first 2 shown]
	v_fma_f64 v[124:125], v[126:127], v[136:137], v[124:125]
	global_load_dwordx4 v[136:139], v[134:135], off offset:16
	s_waitcnt vmcnt(0)
	v_mul_f64 v[126:127], v[118:119], v[138:139]
	v_fma_f64 v[126:127], v[116:117], v[136:137], -v[126:127]
	v_mul_f64 v[116:117], v[116:117], v[138:139]
	buffer_store_dword v136, off, s[24:27], 0 offset:772 ; 4-byte Folded Spill
	buffer_store_dword v137, off, s[24:27], 0 offset:776 ; 4-byte Folded Spill
	;; [unrolled: 1-line block ×4, first 2 shown]
	v_fma_f64 v[116:117], v[118:119], v[136:137], v[116:117]
	global_load_dwordx4 v[136:139], v[134:135], off offset:32
	s_waitcnt vmcnt(0) lgkmcnt(11)
	v_mul_f64 v[118:119], v[122:123], v[138:139]
	v_fma_f64 v[118:119], v[120:121], v[136:137], -v[118:119]
	v_mul_f64 v[120:121], v[120:121], v[138:139]
	buffer_store_dword v136, off, s[24:27], 0 offset:548 ; 4-byte Folded Spill
	buffer_store_dword v137, off, s[24:27], 0 offset:552 ; 4-byte Folded Spill
	;; [unrolled: 1-line block ×4, first 2 shown]
	v_fma_f64 v[120:121], v[122:123], v[136:137], v[120:121]
	global_load_dwordx4 v[136:139], v[134:135], off offset:48
	s_waitcnt vmcnt(0)
	v_mul_f64 v[122:123], v[110:111], v[138:139]
	v_fma_f64 v[122:123], v[108:109], v[136:137], -v[122:123]
	v_mul_f64 v[108:109], v[108:109], v[138:139]
	buffer_store_dword v136, off, s[24:27], 0 offset:836 ; 4-byte Folded Spill
	buffer_store_dword v137, off, s[24:27], 0 offset:840 ; 4-byte Folded Spill
	;; [unrolled: 1-line block ×4, first 2 shown]
	global_load_dwordx4 v[140:143], v[134:135], off offset:64
	v_fma_f64 v[136:137], v[110:111], v[136:137], v[108:109]
	s_waitcnt vmcnt(0) lgkmcnt(7)
	v_mul_f64 v[108:109], v[114:115], v[142:143]
	v_fma_f64 v[138:139], v[112:113], v[140:141], -v[108:109]
	v_mul_f64 v[108:109], v[112:113], v[142:143]
	buffer_store_dword v140, off, s[24:27], 0 offset:612 ; 4-byte Folded Spill
	buffer_store_dword v141, off, s[24:27], 0 offset:616 ; 4-byte Folded Spill
	;; [unrolled: 1-line block ×4, first 2 shown]
	v_fma_f64 v[112:113], v[114:115], v[140:141], v[108:109]
	global_load_dwordx4 v[140:143], v[134:135], off offset:80
	v_add_f64 v[112:113], v[124:125], -v[112:113]
	v_fma_f64 v[124:125], v[124:125], 2.0, -v[112:113]
	s_waitcnt vmcnt(0)
	v_mul_f64 v[108:109], v[102:103], v[142:143]
	v_fma_f64 v[114:115], v[100:101], v[140:141], -v[108:109]
	v_mul_f64 v[100:101], v[100:101], v[142:143]
	buffer_store_dword v140, off, s[24:27], 0 offset:852 ; 4-byte Folded Spill
	buffer_store_dword v141, off, s[24:27], 0 offset:856 ; 4-byte Folded Spill
	;; [unrolled: 1-line block ×4, first 2 shown]
	global_load_dwordx4 v[108:111], v[134:135], off offset:96
	v_add_f64 v[114:115], v[126:127], -v[114:115]
	v_fma_f64 v[140:141], v[102:103], v[140:141], v[100:101]
	s_waitcnt vmcnt(0) lgkmcnt(3)
	v_mul_f64 v[100:101], v[106:107], v[110:111]
	v_fma_f64 v[134:135], v[104:105], v[108:109], -v[100:101]
	v_mul_f64 v[100:101], v[104:105], v[110:111]
	buffer_store_dword v108, off, s[24:27], 0 offset:628 ; 4-byte Folded Spill
	buffer_store_dword v109, off, s[24:27], 0 offset:632 ; 4-byte Folded Spill
	;; [unrolled: 1-line block ×4, first 2 shown]
	v_add_f64 v[134:135], v[118:119], -v[134:135]
	v_fma_f64 v[142:143], v[106:107], v[108:109], v[100:101]
	v_mul_lo_u16 v100, v133, 26
	v_lshrrev_b16 v108, 8, v100
	v_mul_lo_u16 v100, v108, 10
	v_sub_nc_u16 v109, v133, v100
	v_and_b32_e32 v100, 0xff, v109
	v_mad_u64_u32 v[102:103], null, 0x70, v100, s[14:15]
	global_load_dwordx4 v[104:107], v[102:103], off
	s_waitcnt vmcnt(0)
	v_mul_f64 v[100:101], v[98:99], v[106:107]
	v_fma_f64 v[100:101], v[96:97], v[104:105], -v[100:101]
	v_mul_f64 v[96:97], v[96:97], v[106:107]
	buffer_store_dword v104, off, s[24:27], 0 offset:580 ; 4-byte Folded Spill
	buffer_store_dword v105, off, s[24:27], 0 offset:584 ; 4-byte Folded Spill
	buffer_store_dword v106, off, s[24:27], 0 offset:588 ; 4-byte Folded Spill
	buffer_store_dword v107, off, s[24:27], 0 offset:592 ; 4-byte Folded Spill
	v_fma_f64 v[96:97], v[98:99], v[104:105], v[96:97]
	global_load_dwordx4 v[104:107], v[102:103], off offset:16
	s_waitcnt vmcnt(0)
	v_mul_f64 v[98:99], v[94:95], v[106:107]
	v_fma_f64 v[98:99], v[92:93], v[104:105], -v[98:99]
	v_mul_f64 v[92:93], v[92:93], v[106:107]
	buffer_store_dword v104, off, s[24:27], 0 offset:564 ; 4-byte Folded Spill
	buffer_store_dword v105, off, s[24:27], 0 offset:568 ; 4-byte Folded Spill
	buffer_store_dword v106, off, s[24:27], 0 offset:572 ; 4-byte Folded Spill
	buffer_store_dword v107, off, s[24:27], 0 offset:576 ; 4-byte Folded Spill
	v_fma_f64 v[92:93], v[94:95], v[104:105], v[92:93]
	global_load_dwordx4 v[104:107], v[102:103], off offset:32
	;; [unrolled: 10-line block ×4, first 2 shown]
	s_waitcnt vmcnt(0)
	v_mul_f64 v[82:83], v[86:87], v[106:107]
	v_fma_f64 v[82:83], v[84:85], v[104:105], -v[82:83]
	v_mul_f64 v[84:85], v[84:85], v[106:107]
	buffer_store_dword v104, off, s[24:27], 0 offset:692 ; 4-byte Folded Spill
	buffer_store_dword v105, off, s[24:27], 0 offset:696 ; 4-byte Folded Spill
	;; [unrolled: 1-line block ×4, first 2 shown]
	v_add_f64 v[82:83], v[100:101], -v[82:83]
	v_fma_f64 v[84:85], v[86:87], v[104:105], v[84:85]
	global_load_dwordx4 v[104:107], v[102:103], off offset:80
	v_add_f64 v[84:85], v[96:97], -v[84:85]
	s_waitcnt vmcnt(0)
	v_mul_f64 v[86:87], v[74:75], v[106:107]
	v_fma_f64 v[86:87], v[72:73], v[104:105], -v[86:87]
	v_mul_f64 v[72:73], v[72:73], v[106:107]
	buffer_store_dword v104, off, s[24:27], 0 offset:724 ; 4-byte Folded Spill
	buffer_store_dword v105, off, s[24:27], 0 offset:728 ; 4-byte Folded Spill
	;; [unrolled: 1-line block ×4, first 2 shown]
	v_add_f64 v[86:87], v[98:99], -v[86:87]
	v_fma_f64 v[74:75], v[74:75], v[104:105], v[72:73]
	global_load_dwordx4 v[104:107], v[102:103], off offset:96
	v_add_f64 v[74:75], v[92:93], -v[74:75]
	s_waitcnt vmcnt(0) lgkmcnt(1)
	v_mul_f64 v[72:73], v[78:79], v[106:107]
	v_fma_f64 v[102:103], v[76:77], v[104:105], -v[72:73]
	v_mul_f64 v[72:73], v[76:77], v[106:107]
	buffer_store_dword v104, off, s[24:27], 0 offset:740 ; 4-byte Folded Spill
	buffer_store_dword v105, off, s[24:27], 0 offset:744 ; 4-byte Folded Spill
	;; [unrolled: 1-line block ×4, first 2 shown]
	v_add_f64 v[102:103], v[94:95], -v[102:103]
	v_fma_f64 v[76:77], v[78:79], v[104:105], v[72:73]
	v_mul_lo_u16 v72, v132, 26
	v_lshrrev_b16 v110, 8, v72
	v_mul_lo_u16 v72, v110, 10
	v_sub_nc_u16 v72, v132, v72
	v_add_f64 v[132:133], v[129:130], -v[138:139]
	v_and_b32_e32 v111, 0xff, v72
	v_add_f64 v[76:77], v[88:89], -v[76:77]
	v_mad_u64_u32 v[104:105], null, 0x70, v111, s[14:15]
	global_load_dwordx4 v[144:147], v[104:105], off
	s_waitcnt vmcnt(0)
	v_mul_f64 v[72:73], v[70:71], v[146:147]
	v_fma_f64 v[72:73], v[68:69], v[144:145], -v[72:73]
	v_mul_f64 v[68:69], v[68:69], v[146:147]
	buffer_store_dword v144, off, s[24:27], 0 offset:804 ; 4-byte Folded Spill
	buffer_store_dword v145, off, s[24:27], 0 offset:808 ; 4-byte Folded Spill
	buffer_store_dword v146, off, s[24:27], 0 offset:812 ; 4-byte Folded Spill
	buffer_store_dword v147, off, s[24:27], 0 offset:816 ; 4-byte Folded Spill
	v_fma_f64 v[68:69], v[70:71], v[144:145], v[68:69]
	global_load_dwordx4 v[144:147], v[104:105], off offset:16
	s_waitcnt vmcnt(0)
	v_mul_f64 v[70:71], v[62:63], v[146:147]
	v_fma_f64 v[70:71], v[60:61], v[144:145], -v[70:71]
	v_mul_f64 v[60:61], v[60:61], v[146:147]
	buffer_store_dword v144, off, s[24:27], 0 offset:788 ; 4-byte Folded Spill
	buffer_store_dword v145, off, s[24:27], 0 offset:792 ; 4-byte Folded Spill
	buffer_store_dword v146, off, s[24:27], 0 offset:796 ; 4-byte Folded Spill
	buffer_store_dword v147, off, s[24:27], 0 offset:800 ; 4-byte Folded Spill
	v_fma_f64 v[60:61], v[62:63], v[144:145], v[60:61]
	global_load_dwordx4 v[144:147], v[104:105], off offset:32
	;; [unrolled: 10-line block ×3, first 2 shown]
	s_waitcnt vmcnt(0)
	v_mul_f64 v[54:55], v[50:51], v[146:147]
	v_fma_f64 v[54:55], v[48:49], v[144:145], -v[54:55]
	v_mul_f64 v[48:49], v[48:49], v[146:147]
	buffer_store_dword v144, off, s[24:27], 0 offset:756 ; 4-byte Folded Spill
	buffer_store_dword v145, off, s[24:27], 0 offset:760 ; 4-byte Folded Spill
	;; [unrolled: 1-line block ×4, first 2 shown]
	v_add_f64 v[54:55], v[4:5], -v[54:55]
	v_fma_f64 v[50:51], v[50:51], v[144:145], v[48:49]
	global_load_dwordx4 v[144:147], v[104:105], off offset:64
	v_add_f64 v[50:51], v[6:7], -v[50:51]
	s_waitcnt vmcnt(0)
	v_mul_f64 v[48:49], v[46:47], v[146:147]
	v_fma_f64 v[48:49], v[44:45], v[144:145], -v[48:49]
	v_mul_f64 v[44:45], v[44:45], v[146:147]
	buffer_store_dword v144, off, s[24:27], 0 offset:644 ; 4-byte Folded Spill
	buffer_store_dword v145, off, s[24:27], 0 offset:648 ; 4-byte Folded Spill
	;; [unrolled: 1-line block ×4, first 2 shown]
	v_add_f64 v[150:151], v[72:73], -v[48:49]
	v_fma_f64 v[44:45], v[46:47], v[144:145], v[44:45]
	global_load_dwordx4 v[144:147], v[104:105], off offset:80
	v_add_f64 v[152:153], v[68:69], -v[44:45]
	s_waitcnt vmcnt(0)
	v_mul_f64 v[46:47], v[42:43], v[146:147]
	v_fma_f64 v[46:47], v[40:41], v[144:145], -v[46:47]
	v_mul_f64 v[40:41], v[40:41], v[146:147]
	buffer_store_dword v144, off, s[24:27], 0 offset:708 ; 4-byte Folded Spill
	buffer_store_dword v145, off, s[24:27], 0 offset:712 ; 4-byte Folded Spill
	;; [unrolled: 1-line block ×4, first 2 shown]
	v_fma_f64 v[78:79], v[42:43], v[144:145], v[40:41]
	global_load_dwordx4 v[144:147], v[104:105], off offset:96
	v_add_f64 v[78:79], v[60:61], -v[78:79]
	v_add_f64 v[154:155], v[54:55], -v[78:79]
	s_waitcnt vmcnt(0) lgkmcnt(0)
	v_mul_f64 v[40:41], v[38:39], v[146:147]
	v_fma_f64 v[104:105], v[36:37], v[144:145], -v[40:41]
	v_mul_f64 v[36:37], v[36:37], v[146:147]
	buffer_store_dword v144, off, s[24:27], 0 offset:660 ; 4-byte Folded Spill
	buffer_store_dword v145, off, s[24:27], 0 offset:664 ; 4-byte Folded Spill
	;; [unrolled: 1-line block ×4, first 2 shown]
	v_add_f64 v[104:105], v[62:63], -v[104:105]
	v_fma_f64 v[106:107], v[38:39], v[144:145], v[36:37]
	v_mul_lo_u16 v36, v128, 26
	v_lshrrev_b16 v36, 8, v36
	buffer_store_dword v36, off, s[24:27], 0 offset:524 ; 4-byte Folded Spill
	v_mul_lo_u16 v36, v36, 10
	v_sub_nc_u16 v36, v128, v36
	v_fma_f64 v[128:129], v[129:130], 2.0, -v[132:133]
	v_and_b32_e32 v36, 0xff, v36
	v_add_f64 v[106:107], v[52:53], -v[106:107]
	v_mad_u64_u32 v[40:41], null, 0x70, v36, s[14:15]
	buffer_store_dword v36, off, s[24:27], 0 offset:528 ; 4-byte Folded Spill
	global_load_dwordx4 v[144:147], v[40:41], off
	v_add_f64 v[44:45], v[150:151], -v[106:107]
	v_fma_f64 v[48:49], v[150:151], 2.0, -v[44:45]
	s_waitcnt vmcnt(0)
	v_mul_f64 v[36:37], v[14:15], v[146:147]
	v_fma_f64 v[36:37], v[12:13], v[144:145], -v[36:37]
	v_mul_f64 v[12:13], v[12:13], v[146:147]
	buffer_store_dword v144, off, s[24:27], 0 offset:968 ; 4-byte Folded Spill
	buffer_store_dword v145, off, s[24:27], 0 offset:972 ; 4-byte Folded Spill
	buffer_store_dword v146, off, s[24:27], 0 offset:976 ; 4-byte Folded Spill
	buffer_store_dword v147, off, s[24:27], 0 offset:980 ; 4-byte Folded Spill
	v_fma_f64 v[12:13], v[14:15], v[144:145], v[12:13]
	global_load_dwordx4 v[144:147], v[40:41], off offset:16
	s_waitcnt vmcnt(0)
	v_mul_f64 v[14:15], v[18:19], v[146:147]
	v_fma_f64 v[14:15], v[16:17], v[144:145], -v[14:15]
	v_mul_f64 v[16:17], v[16:17], v[146:147]
	buffer_store_dword v144, off, s[24:27], 0 offset:984 ; 4-byte Folded Spill
	buffer_store_dword v145, off, s[24:27], 0 offset:988 ; 4-byte Folded Spill
	buffer_store_dword v146, off, s[24:27], 0 offset:992 ; 4-byte Folded Spill
	buffer_store_dword v147, off, s[24:27], 0 offset:996 ; 4-byte Folded Spill
	v_fma_f64 v[16:17], v[18:19], v[144:145], v[16:17]
	global_load_dwordx4 v[144:147], v[40:41], off offset:32
	;; [unrolled: 10-line block ×3, first 2 shown]
	s_waitcnt vmcnt(0)
	v_mul_f64 v[20:21], v[26:27], v[146:147]
	v_mul_f64 v[22:23], v[24:25], v[146:147]
	v_fma_f64 v[20:21], v[24:25], v[144:145], -v[20:21]
	buffer_store_dword v144, off, s[24:27], 0 offset:1016 ; 4-byte Folded Spill
	buffer_store_dword v145, off, s[24:27], 0 offset:1020 ; 4-byte Folded Spill
	;; [unrolled: 1-line block ×4, first 2 shown]
	v_fma_f64 v[22:23], v[26:27], v[144:145], v[22:23]
	global_load_dwordx4 v[144:147], v[40:41], off offset:64
	s_waitcnt vmcnt(0)
	v_mul_f64 v[24:25], v[30:31], v[146:147]
	v_mul_f64 v[26:27], v[28:29], v[146:147]
	v_fma_f64 v[24:25], v[28:29], v[144:145], -v[24:25]
	buffer_store_dword v144, off, s[24:27], 0 offset:1032 ; 4-byte Folded Spill
	buffer_store_dword v145, off, s[24:27], 0 offset:1036 ; 4-byte Folded Spill
	;; [unrolled: 1-line block ×4, first 2 shown]
	v_fma_f64 v[26:27], v[30:31], v[144:145], v[26:27]
	global_load_dwordx4 v[144:147], v[40:41], off offset:80
	v_add_f64 v[26:27], v[12:13], -v[26:27]
	s_waitcnt vmcnt(0)
	v_mul_f64 v[28:29], v[58:59], v[146:147]
	v_mul_f64 v[30:31], v[56:57], v[146:147]
	v_fma_f64 v[28:29], v[56:57], v[144:145], -v[28:29]
	buffer_store_dword v144, off, s[24:27], 0 offset:1048 ; 4-byte Folded Spill
	buffer_store_dword v145, off, s[24:27], 0 offset:1052 ; 4-byte Folded Spill
	;; [unrolled: 1-line block ×4, first 2 shown]
	v_fma_f64 v[30:31], v[58:59], v[144:145], v[30:31]
	global_load_dwordx4 v[56:59], v[40:41], off offset:96
	v_add_f64 v[144:145], v[112:113], v[134:135]
	s_waitcnt vmcnt(0)
	v_mul_f64 v[40:41], v[66:67], v[58:59]
	v_mul_f64 v[42:43], v[64:65], v[58:59]
	v_fma_f64 v[40:41], v[64:65], v[56:57], -v[40:41]
	buffer_store_dword v56, off, s[24:27], 0 offset:1064 ; 4-byte Folded Spill
	buffer_store_dword v57, off, s[24:27], 0 offset:1068 ; 4-byte Folded Spill
	;; [unrolled: 1-line block ×4, first 2 shown]
	buffer_load_dword v160, off, s[24:27], 0 ; 4-byte Folded Reload
	v_add_f64 v[64:65], v[32:33], -v[122:123]
	v_add_f64 v[122:123], v[116:117], -v[140:141]
	s_waitcnt vmcnt(0)
	s_waitcnt_vscnt null, 0x0
	s_barrier
	buffer_gl0_inv
	v_fma_f64 v[32:33], v[32:33], 2.0, -v[64:65]
	v_add_f64 v[138:139], v[64:65], -v[122:123]
	v_fma_f64 v[116:117], v[116:117], 2.0, -v[122:123]
	v_fma_f64 v[146:147], v[64:65], 2.0, -v[138:139]
	;; [unrolled: 1-line block ×4, first 2 shown]
	v_fma_f64 v[42:43], v[66:67], v[56:57], v[42:43]
	v_add_f64 v[66:67], v[34:35], -v[136:137]
	v_add_f64 v[136:137], v[120:121], -v[142:143]
	v_fma_f64 v[34:35], v[34:35], 2.0, -v[66:67]
	v_add_f64 v[140:141], v[66:67], v[114:115]
	v_add_f64 v[142:143], v[132:133], -v[136:137]
	v_fma_f64 v[118:119], v[120:121], 2.0, -v[136:137]
	v_fma_f64 v[114:115], v[126:127], 2.0, -v[114:115]
	v_cndmask_b32_e64 v120, 0, 0x50, s0
	v_add_f64 v[136:137], v[82:83], -v[76:77]
	v_fma_f64 v[58:59], v[144:145], s[6:7], v[140:141]
	v_fma_f64 v[56:57], v[142:143], s[6:7], v[138:139]
	v_fma_f64 v[148:149], v[66:67], 2.0, -v[140:141]
	v_fma_f64 v[66:67], v[132:133], 2.0, -v[142:143]
	v_or_b32_e32 v132, v131, v120
	v_add_f64 v[120:121], v[128:129], -v[112:113]
	v_add_f64 v[122:123], v[124:125], -v[118:119]
	;; [unrolled: 1-line block ×4, first 2 shown]
	v_add_lshl_u32 v161, v160, v132, 4
	v_fma_f64 v[58:59], v[142:143], s[6:7], v[58:59]
	v_fma_f64 v[56:57], v[144:145], s[4:5], v[56:57]
	;; [unrolled: 1-line block ×4, first 2 shown]
	v_add_f64 v[112:113], v[126:127], -v[122:123]
	v_add_f64 v[114:115], v[130:131], v[120:121]
	ds_write_b128 v161, v[56:59] offset:1120
	v_fma_f64 v[66:67], v[66:67], s[6:7], v[144:145]
	v_fma_f64 v[64:65], v[64:65], s[4:5], v[142:143]
	v_add_f64 v[144:145], v[70:71], -v[46:47]
	v_add_f64 v[46:47], v[152:153], v[104:105]
	v_fma_f64 v[116:117], v[126:127], 2.0, -v[112:113]
	v_fma_f64 v[118:119], v[130:131], 2.0, -v[114:115]
	ds_write_b128 v161, v[112:115] offset:960
	v_fma_f64 v[112:113], v[138:139], 2.0, -v[56:57]
	v_fma_f64 v[114:115], v[140:141], 2.0, -v[58:59]
	v_add_f64 v[56:57], v[8:9], -v[90:91]
	v_add_f64 v[58:59], v[10:11], -v[80:81]
	v_add_f64 v[138:139], v[84:85], v[102:103]
	ds_write_b128 v161, v[116:119] offset:320
	ds_write_b128 v161, v[112:115] offset:480
	v_add_f64 v[156:157], v[50:51], v[144:145]
	v_add_f64 v[132:133], v[56:57], -v[74:75]
	v_add_f64 v[134:135], v[58:59], v[86:87]
	v_fma_f64 v[80:81], v[8:9], 2.0, -v[56:57]
	v_fma_f64 v[90:91], v[10:11], 2.0, -v[58:59]
	;; [unrolled: 1-line block ×5, first 2 shown]
	v_fma_f64 v[8:9], v[136:137], s[6:7], v[132:133]
	v_fma_f64 v[140:141], v[56:57], 2.0, -v[132:133]
	v_fma_f64 v[142:143], v[58:59], 2.0, -v[134:135]
	;; [unrolled: 1-line block ×3, first 2 shown]
	v_fma_f64 v[10:11], v[138:139], s[6:7], v[134:135]
	v_fma_f64 v[58:59], v[82:83], 2.0, -v[136:137]
	v_fma_f64 v[8:9], v[138:139], s[4:5], v[8:9]
	v_fma_f64 v[138:139], v[56:57], s[4:5], v[142:143]
	;; [unrolled: 1-line block ×5, first 2 shown]
	v_fma_f64 v[138:139], v[6:7], 2.0, -v[50:51]
	v_fma_f64 v[6:7], v[46:47], s[6:7], v[156:157]
	v_fma_f64 v[56:57], v[56:57], s[4:5], v[136:137]
	v_fma_f64 v[136:137], v[4:5], 2.0, -v[54:55]
	v_fma_f64 v[4:5], v[44:45], s[6:7], v[154:155]
	v_fma_f64 v[54:55], v[54:55], 2.0, -v[154:155]
	;; [unrolled: 2-line block ×3, first 2 shown]
	v_fma_f64 v[4:5], v[46:47], s[4:5], v[4:5]
	v_fma_f64 v[46:47], v[48:49], s[4:5], v[54:55]
	;; [unrolled: 1-line block ×5, first 2 shown]
	v_fma_f64 v[48:49], v[128:129], 2.0, -v[120:121]
	v_fma_f64 v[50:51], v[124:125], 2.0, -v[122:123]
	v_add_f64 v[32:33], v[112:113], -v[48:49]
	v_add_f64 v[34:35], v[114:115], -v[50:51]
	v_fma_f64 v[48:49], v[112:113], 2.0, -v[32:33]
	v_fma_f64 v[50:51], v[114:115], 2.0, -v[34:35]
	ds_write_b128 v161, v[32:35] offset:640
	v_fma_f64 v[32:33], v[146:147], 2.0, -v[64:65]
	v_fma_f64 v[34:35], v[148:149], 2.0, -v[66:67]
	ds_write_b128 v161, v[64:67] offset:800
	ds_write_b128 v161, v[48:51]
	v_fma_f64 v[64:65], v[100:101], 2.0, -v[82:83]
	v_fma_f64 v[66:67], v[96:97], 2.0, -v[84:85]
	;; [unrolled: 1-line block ×3, first 2 shown]
	ds_write_b128 v161, v[32:35] offset:160
	v_fma_f64 v[32:33], v[94:95], 2.0, -v[102:103]
	v_fma_f64 v[34:35], v[88:89], 2.0, -v[76:77]
	;; [unrolled: 1-line block ×3, first 2 shown]
	v_mul_lo_u16 v74, 0x50, v108
	buffer_store_dword v161, off, s[24:27], 0 offset:868 ; 4-byte Folded Spill
	v_or_b32_e32 v86, v74, v109
	v_and_b32_e32 v86, 0xff, v86
	v_add_lshl_u32 v86, v160, v86, 4
	v_add_f64 v[82:83], v[80:81], -v[48:49]
	v_add_f64 v[74:75], v[64:65], -v[32:33]
	;; [unrolled: 1-line block ×5, first 2 shown]
	v_add_f64 v[34:35], v[84:85], v[74:75]
	v_fma_f64 v[48:49], v[82:83], 2.0, -v[32:33]
	v_fma_f64 v[50:51], v[84:85], 2.0, -v[34:35]
	ds_write_b128 v86, v[48:51] offset:320
	v_fma_f64 v[48:49], v[132:133], 2.0, -v[8:9]
	v_fma_f64 v[50:51], v[134:135], 2.0, -v[10:11]
	ds_write_b128 v86, v[48:51] offset:480
	v_fma_f64 v[48:49], v[64:65], 2.0, -v[74:75]
	v_fma_f64 v[50:51], v[66:67], 2.0, -v[76:77]
	;; [unrolled: 1-line block ×4, first 2 shown]
	v_add_f64 v[48:49], v[64:65], -v[48:49]
	v_add_f64 v[50:51], v[66:67], -v[50:51]
	v_fma_f64 v[64:65], v[64:65], 2.0, -v[48:49]
	v_fma_f64 v[66:67], v[66:67], 2.0, -v[50:51]
	ds_write_b128 v86, v[48:51] offset:640
	v_fma_f64 v[48:49], v[140:141], 2.0, -v[56:57]
	v_fma_f64 v[50:51], v[142:143], 2.0, -v[58:59]
	ds_write_b128 v86, v[56:59] offset:800
	ds_write_b128 v86, v[32:35] offset:960
	;; [unrolled: 1-line block ×3, first 2 shown]
	ds_write_b128 v86, v[64:67]
	v_fma_f64 v[8:9], v[72:73], 2.0, -v[150:151]
	v_fma_f64 v[10:11], v[68:69], 2.0, -v[152:153]
	;; [unrolled: 1-line block ×4, first 2 shown]
	buffer_store_dword v86, off, s[24:27], 0 offset:872 ; 4-byte Folded Spill
	ds_write_b128 v86, v[48:51] offset:160
	v_fma_f64 v[48:49], v[70:71], 2.0, -v[144:145]
	v_fma_f64 v[50:51], v[60:61], 2.0, -v[78:79]
	v_add_f64 v[52:53], v[8:9], -v[32:33]
	v_add_f64 v[33:34], v[10:11], -v[34:35]
	v_mov_b32_e32 v32, 0x50
	v_add_f64 v[56:57], v[136:137], -v[48:49]
	v_add_f64 v[58:59], v[138:139], -v[50:51]
	v_mul_u32_u24_sdwa v35, v110, v32 dst_sel:DWORD dst_unused:UNUSED_PAD src0_sel:WORD_0 src1_sel:DWORD
	v_or_b32_e32 v35, v35, v111
	v_add_lshl_u32 v35, v160, v35, 4
	v_fma_f64 v[8:9], v[8:9], 2.0, -v[52:53]
	v_fma_f64 v[10:11], v[10:11], 2.0, -v[33:34]
	;; [unrolled: 1-line block ×4, first 2 shown]
	v_add_f64 v[8:9], v[48:49], -v[8:9]
	v_add_f64 v[10:11], v[50:51], -v[10:11]
	v_fma_f64 v[48:49], v[48:49], 2.0, -v[8:9]
	v_fma_f64 v[50:51], v[50:51], 2.0, -v[10:11]
	ds_write_b128 v35, v[48:51]
	v_fma_f64 v[48:49], v[54:55], 2.0, -v[44:45]
	v_fma_f64 v[50:51], v[158:159], 2.0, -v[46:47]
	ds_write_b128 v35, v[48:51] offset:160
	v_add_f64 v[48:49], v[56:57], -v[33:34]
	v_add_f64 v[50:51], v[58:59], v[52:53]
	v_fma_f64 v[52:53], v[56:57], 2.0, -v[48:49]
	v_fma_f64 v[54:55], v[58:59], 2.0, -v[50:51]
	ds_write_b128 v35, v[52:55] offset:320
	v_fma_f64 v[52:53], v[154:155], 2.0, -v[4:5]
	v_fma_f64 v[54:55], v[156:157], 2.0, -v[6:7]
	ds_write_b128 v35, v[52:55] offset:480
	ds_write_b128 v35, v[8:11] offset:640
	;; [unrolled: 1-line block ×5, first 2 shown]
	v_add_f64 v[10:11], v[0:1], -v[20:21]
	v_add_f64 v[20:21], v[2:3], -v[22:23]
	;; [unrolled: 1-line block ×6, first 2 shown]
	buffer_store_dword v35, off, s[24:27], 0 offset:876 ; 4-byte Folded Spill
	v_fma_f64 v[0:1], v[0:1], 2.0, -v[10:11]
	v_fma_f64 v[6:7], v[2:3], 2.0, -v[20:21]
	v_add_f64 v[2:3], v[16:17], -v[30:31]
	v_fma_f64 v[24:25], v[14:15], 2.0, -v[4:5]
	v_add_f64 v[4:5], v[20:21], v[4:5]
	v_add_f64 v[30:31], v[26:27], v[8:9]
	v_fma_f64 v[33:34], v[38:39], 2.0, -v[8:9]
	v_fma_f64 v[38:39], v[18:19], 2.0, -v[28:29]
	v_add_f64 v[28:29], v[22:23], -v[28:29]
	v_fma_f64 v[18:19], v[12:13], 2.0, -v[26:27]
	v_fma_f64 v[16:17], v[16:17], 2.0, -v[2:3]
	v_add_f64 v[2:3], v[10:11], -v[2:3]
	v_fma_f64 v[14:15], v[30:31], s[6:7], v[4:5]
	v_add_f64 v[12:13], v[6:7], -v[16:17]
	v_fma_f64 v[8:9], v[28:29], s[6:7], v[2:3]
	v_fma_f64 v[42:43], v[28:29], s[6:7], v[14:15]
	v_fma_f64 v[14:15], v[36:37], 2.0, -v[22:23]
	v_fma_f64 v[40:41], v[30:31], s[4:5], v[8:9]
	v_add_f64 v[8:9], v[0:1], -v[24:25]
	v_add_f64 v[24:25], v[18:19], -v[38:39]
	;; [unrolled: 1-line block ×3, first 2 shown]
	buffer_store_dword v40, off, s[24:27], 0 offset:4 ; 4-byte Folded Spill
	buffer_store_dword v41, off, s[24:27], 0 offset:8 ; 4-byte Folded Spill
	buffer_store_dword v42, off, s[24:27], 0 offset:12 ; 4-byte Folded Spill
	buffer_store_dword v43, off, s[24:27], 0 offset:16 ; 4-byte Folded Spill
	v_add_f64 v[33:34], v[8:9], -v[24:25]
	v_add_f64 v[35:36], v[12:13], v[16:17]
	buffer_store_dword v33, off, s[24:27], 0 offset:20 ; 4-byte Folded Spill
	buffer_store_dword v34, off, s[24:27], 0 offset:24 ; 4-byte Folded Spill
	;; [unrolled: 1-line block ×4, first 2 shown]
	s_and_saveexec_b32 s0, vcc_lo
	s_cbranch_execz .LBB0_5
; %bb.4:
	v_fma_f64 v[33:34], v[20:21], 2.0, -v[4:5]
	v_fma_f64 v[26:27], v[26:27], 2.0, -v[30:31]
	;; [unrolled: 1-line block ×7, first 2 shown]
	s_clause 0x7
	buffer_load_dword v35, off, s[24:27], 0 offset:4
	buffer_load_dword v36, off, s[24:27], 0 offset:8
	buffer_load_dword v37, off, s[24:27], 0 offset:12
	buffer_load_dword v38, off, s[24:27], 0 offset:16
	buffer_load_dword v39, off, s[24:27], 0 offset:20
	buffer_load_dword v40, off, s[24:27], 0 offset:24
	buffer_load_dword v41, off, s[24:27], 0 offset:28
	buffer_load_dword v42, off, s[24:27], 0 offset:32
	v_fma_f64 v[6:7], v[6:7], 2.0, -v[12:13]
	v_fma_f64 v[18:19], v[26:27], s[4:5], v[33:34]
	v_fma_f64 v[22:23], v[20:21], s[4:5], v[30:31]
	v_add_f64 v[14:15], v[0:1], -v[14:15]
	v_add_f64 v[16:17], v[6:7], -v[10:11]
	v_fma_f64 v[20:21], v[20:21], s[6:7], v[18:19]
	v_fma_f64 v[18:19], v[26:27], s[4:5], v[22:23]
	v_fma_f64 v[22:23], v[0:1], 2.0, -v[14:15]
	s_clause 0x1
	buffer_load_dword v0, off, s[24:27], 0 offset:524
	buffer_load_dword v1, off, s[24:27], 0 offset:528
	v_fma_f64 v[24:25], v[6:7], 2.0, -v[16:17]
	v_fma_f64 v[28:29], v[33:34], 2.0, -v[20:21]
	;; [unrolled: 1-line block ×3, first 2 shown]
	s_waitcnt vmcnt(6)
	v_fma_f64 v[4:5], v[4:5], 2.0, -v[37:38]
	s_waitcnt vmcnt(2)
	v_fma_f64 v[10:11], v[12:13], 2.0, -v[41:42]
	v_fma_f64 v[8:9], v[8:9], 2.0, -v[39:40]
	;; [unrolled: 1-line block ×3, first 2 shown]
	s_waitcnt vmcnt(1)
	v_mul_u32_u24_sdwa v0, v0, v32 dst_sel:DWORD dst_unused:UNUSED_PAD src0_sel:WORD_0 src1_sel:DWORD
	s_waitcnt vmcnt(0)
	v_or_b32_e32 v0, v0, v1
	buffer_load_dword v1, off, s[24:27], 0  ; 4-byte Folded Reload
	s_waitcnt vmcnt(0)
	v_add_lshl_u32 v0, v1, v0, 4
	ds_write_b128 v0, v[39:42] offset:960
	ds_write_b128 v0, v[8:11] offset:320
	;; [unrolled: 1-line block ×4, first 2 shown]
	ds_write_b128 v0, v[22:25]
	ds_write_b128 v0, v[18:21] offset:800
	ds_write_b128 v0, v[26:29] offset:160
	;; [unrolled: 1-line block ×3, first 2 shown]
.LBB0_5:
	s_or_b32 exec_lo, exec_lo, s0
	v_mad_u64_u32 v[140:141], null, 0x50, v212, s[14:15]
	s_waitcnt lgkmcnt(0)
	s_waitcnt_vscnt null, 0x0
	s_barrier
	buffer_gl0_inv
	ds_read_b128 v[96:99], v231
	ds_read_b128 v[4:7], v213 offset:1280
	ds_read_b128 v[8:11], v213 offset:2560
	;; [unrolled: 1-line block ×29, first 2 shown]
	s_mov_b32 s6, 0xe8584caa
	s_mov_b32 s7, 0x3febb67a
	s_clause 0x4
	global_load_dwordx4 v[232:235], v[140:141], off offset:1168
	global_load_dwordx4 v[236:239], v[140:141], off offset:1152
	;; [unrolled: 1-line block ×5, first 2 shown]
	s_mov_b32 s1, 0xbfebb67a
	s_add_u32 s4, s12, 0x1e00
	s_addc_u32 s5, s13, 0
	s_mov_b32 s12, 0x134454ff
	s_mov_b32 s13, 0xbfee6f0e
	;; [unrolled: 1-line block ×9, first 2 shown]
	s_waitcnt vmcnt(1) lgkmcnt(28)
	v_mul_f64 v[116:117], v[6:7], v[250:251]
	v_fma_f64 v[164:165], v[4:5], v[248:249], -v[116:117]
	v_mul_f64 v[4:5], v[4:5], v[250:251]
	v_fma_f64 v[116:117], v[6:7], v[248:249], v[4:5]
	s_waitcnt lgkmcnt(27)
	v_mul_f64 v[4:5], v[10:11], v[242:243]
	v_fma_f64 v[196:197], v[8:9], v[240:241], -v[4:5]
	v_mul_f64 v[4:5], v[8:9], v[242:243]
	v_fma_f64 v[200:201], v[10:11], v[240:241], v[4:5]
	s_waitcnt lgkmcnt(26)
	;; [unrolled: 5-line block ×3, first 2 shown]
	v_mul_f64 v[4:5], v[18:19], v[234:235]
	v_fma_f64 v[204:205], v[16:17], v[232:233], -v[4:5]
	v_mul_f64 v[4:5], v[16:17], v[234:235]
	v_fma_f64 v[206:207], v[18:19], v[232:233], v[4:5]
	s_waitcnt vmcnt(0) lgkmcnt(24)
	v_mul_f64 v[4:5], v[22:23], v[246:247]
	v_fma_f64 v[132:133], v[20:21], v[244:245], -v[4:5]
	v_mul_f64 v[4:5], v[20:21], v[246:247]
	v_add_co_u32 v20, s0, 0x500, v140
	v_add_co_ci_u32_e64 v21, s0, 0, v141, s0
	v_fma_f64 v[136:137], v[22:23], v[244:245], v[4:5]
	s_clause 0x3
	global_load_dwordx4 v[4:7], v[20:21], off offset:1168
	global_load_dwordx4 v[8:11], v[20:21], off offset:1152
	;; [unrolled: 1-line block ×4, first 2 shown]
	s_waitcnt vmcnt(0) lgkmcnt(22)
	v_mul_f64 v[22:23], v[30:31], v[18:19]
	v_fma_f64 v[126:127], v[28:29], v[16:17], -v[22:23]
	v_mul_f64 v[22:23], v[28:29], v[18:19]
	v_fma_f64 v[120:121], v[30:31], v[16:17], v[22:23]
	s_waitcnt lgkmcnt(21)
	v_mul_f64 v[22:23], v[34:35], v[14:15]
	v_fma_f64 v[130:131], v[32:33], v[12:13], -v[22:23]
	v_mul_f64 v[22:23], v[32:33], v[14:15]
	v_fma_f64 v[134:135], v[34:35], v[12:13], v[22:23]
	s_waitcnt lgkmcnt(20)
	;; [unrolled: 5-line block ×3, first 2 shown]
	v_mul_f64 v[22:23], v[144:145], v[6:7]
	v_fma_f64 v[138:139], v[142:143], v[4:5], -v[22:23]
	v_mul_f64 v[22:23], v[142:143], v[6:7]
	v_add_co_u32 v142, s0, 0xa00, v140
	v_add_co_ci_u32_e64 v143, s0, 0, v141, s0
	v_fma_f64 v[166:167], v[144:145], v[4:5], v[22:23]
	global_load_dwordx4 v[20:23], v[20:21], off offset:1184
	s_waitcnt vmcnt(0) lgkmcnt(18)
	v_mul_f64 v[28:29], v[26:27], v[22:23]
	v_fma_f64 v[198:199], v[24:25], v[20:21], -v[28:29]
	v_mul_f64 v[24:25], v[24:25], v[22:23]
	v_fma_f64 v[202:203], v[26:27], v[20:21], v[24:25]
	s_clause 0x3
	global_load_dwordx4 v[24:27], v[142:143], off offset:1168
	global_load_dwordx4 v[28:31], v[142:143], off offset:1152
	;; [unrolled: 1-line block ×4, first 2 shown]
	s_waitcnt vmcnt(0) lgkmcnt(16)
	v_mul_f64 v[144:145], v[62:63], v[38:39]
	v_fma_f64 v[154:155], v[60:61], v[36:37], -v[144:145]
	v_mul_f64 v[60:61], v[60:61], v[38:39]
	v_fma_f64 v[148:149], v[62:63], v[36:37], v[60:61]
	s_waitcnt lgkmcnt(15)
	v_mul_f64 v[60:61], v[54:55], v[34:35]
	v_fma_f64 v[168:169], v[52:53], v[32:33], -v[60:61]
	v_mul_f64 v[52:53], v[52:53], v[34:35]
	v_fma_f64 v[170:171], v[54:55], v[32:33], v[52:53]
	s_waitcnt lgkmcnt(14)
	;; [unrolled: 5-line block ×3, first 2 shown]
	v_mul_f64 v[48:49], v[42:43], v[26:27]
	v_fma_f64 v[172:173], v[40:41], v[24:25], -v[48:49]
	v_mul_f64 v[40:41], v[40:41], v[26:27]
	v_fma_f64 v[174:175], v[42:43], v[24:25], v[40:41]
	global_load_dwordx4 v[40:43], v[142:143], off offset:1184
	v_add_co_u32 v142, s0, 0xf00, v140
	v_add_co_ci_u32_e64 v143, s0, 0, v141, s0
	v_add_co_u32 v208, s0, 0x1400, v140
	v_add_co_ci_u32_e64 v209, s0, 0, v141, s0
	s_mov_b32 s0, s6
	s_waitcnt vmcnt(0) lgkmcnt(12)
	v_mul_f64 v[48:49], v[46:47], v[42:43]
	v_fma_f64 v[156:157], v[44:45], v[40:41], -v[48:49]
	v_mul_f64 v[44:45], v[44:45], v[42:43]
	v_fma_f64 v[158:159], v[46:47], v[40:41], v[44:45]
	s_clause 0x3
	global_load_dwordx4 v[44:47], v[142:143], off offset:1168
	global_load_dwordx4 v[48:51], v[142:143], off offset:1152
	;; [unrolled: 1-line block ×4, first 2 shown]
	s_waitcnt vmcnt(0) lgkmcnt(10)
	v_mul_f64 v[144:145], v[82:83], v[62:63]
	v_fma_f64 v[186:187], v[80:81], v[60:61], -v[144:145]
	v_mul_f64 v[80:81], v[80:81], v[62:63]
	v_fma_f64 v[162:163], v[82:83], v[60:61], v[80:81]
	s_waitcnt lgkmcnt(9)
	v_mul_f64 v[80:81], v[78:79], v[54:55]
	v_fma_f64 v[192:193], v[76:77], v[52:53], -v[80:81]
	v_mul_f64 v[76:77], v[76:77], v[54:55]
	v_fma_f64 v[194:195], v[78:79], v[52:53], v[76:77]
	s_waitcnt lgkmcnt(8)
	;; [unrolled: 5-line block ×3, first 2 shown]
	v_mul_f64 v[72:73], v[66:67], v[46:47]
	v_fma_f64 v[252:253], v[64:65], v[44:45], -v[72:73]
	v_mul_f64 v[64:65], v[64:65], v[46:47]
	v_fma_f64 v[254:255], v[66:67], v[44:45], v[64:65]
	global_load_dwordx4 v[64:67], v[142:143], off offset:1184
	s_waitcnt vmcnt(0) lgkmcnt(6)
	v_mul_f64 v[72:73], v[70:71], v[66:67]
	v_fma_f64 v[188:189], v[68:69], v[64:65], -v[72:73]
	v_mul_f64 v[68:69], v[68:69], v[66:67]
	v_fma_f64 v[190:191], v[70:71], v[64:65], v[68:69]
	s_clause 0x3
	global_load_dwordx4 v[68:71], v[208:209], off offset:1168
	global_load_dwordx4 v[72:75], v[208:209], off offset:1152
	global_load_dwordx4 v[76:79], v[208:209], off offset:1136
	global_load_dwordx4 v[80:83], v[208:209], off offset:1120
	s_waitcnt vmcnt(0) lgkmcnt(4)
	v_mul_f64 v[140:141], v[114:115], v[82:83]
	v_fma_f64 v[146:147], v[112:113], v[80:81], -v[140:141]
	v_mul_f64 v[112:113], v[112:113], v[82:83]
	v_fma_f64 v[140:141], v[114:115], v[80:81], v[112:113]
	s_waitcnt lgkmcnt(3)
	v_mul_f64 v[112:113], v[110:111], v[78:79]
	v_fma_f64 v[160:161], v[108:109], v[76:77], -v[112:113]
	v_mul_f64 v[108:109], v[108:109], v[78:79]
	v_fma_f64 v[176:177], v[110:111], v[76:77], v[108:109]
	s_waitcnt lgkmcnt(2)
	;; [unrolled: 5-line block ×3, first 2 shown]
	v_mul_f64 v[104:105], v[58:59], v[70:71]
	v_fma_f64 v[178:179], v[56:57], v[68:69], -v[104:105]
	v_mul_f64 v[56:57], v[56:57], v[70:71]
	v_fma_f64 v[182:183], v[58:59], v[68:69], v[56:57]
	global_load_dwordx4 v[56:59], v[208:209], off offset:1184
	s_waitcnt vmcnt(0) lgkmcnt(0)
	v_mul_f64 v[104:105], v[102:103], v[58:59]
	v_fma_f64 v[208:209], v[100:101], v[56:57], -v[104:105]
	v_mul_f64 v[100:101], v[100:101], v[58:59]
	v_fma_f64 v[210:211], v[102:103], v[56:57], v[100:101]
	v_add_f64 v[100:101], v[96:97], v[196:197]
	v_add_f64 v[108:109], v[100:101], v[204:205]
	;; [unrolled: 1-line block ×3, first 2 shown]
	v_fma_f64 v[96:97], v[100:101], -0.5, v[96:97]
	v_add_f64 v[100:101], v[200:201], -v[206:207]
	v_fma_f64 v[110:111], v[100:101], s[6:7], v[96:97]
	v_fma_f64 v[114:115], v[100:101], s[0:1], v[96:97]
	v_add_f64 v[96:97], v[98:99], v[200:201]
	v_add_f64 v[218:219], v[96:97], v[206:207]
	;; [unrolled: 1-line block ×3, first 2 shown]
	v_fma_f64 v[96:97], v[96:97], -0.5, v[98:99]
	v_add_f64 v[98:99], v[196:197], -v[204:205]
	v_fma_f64 v[196:197], v[98:99], s[0:1], v[96:97]
	v_fma_f64 v[200:201], v[98:99], s[6:7], v[96:97]
	v_add_f64 v[96:97], v[164:165], v[118:119]
	v_add_f64 v[98:99], v[128:129], -v[136:137]
	v_add_f64 v[112:113], v[96:97], v[132:133]
	v_add_f64 v[96:97], v[118:119], v[132:133]
	v_fma_f64 v[96:97], v[96:97], -0.5, v[164:165]
	v_fma_f64 v[102:103], v[98:99], s[6:7], v[96:97]
	v_fma_f64 v[106:107], v[98:99], s[0:1], v[96:97]
	v_add_f64 v[96:97], v[116:117], v[128:129]
	v_add_f64 v[98:99], v[118:119], -v[132:133]
	v_add_f64 v[164:165], v[96:97], v[136:137]
	v_add_f64 v[96:97], v[128:129], v[136:137]
	v_fma_f64 v[96:97], v[96:97], -0.5, v[116:117]
	v_fma_f64 v[116:117], v[98:99], s[0:1], v[96:97]
	v_fma_f64 v[118:119], v[98:99], s[6:7], v[96:97]
	v_add_f64 v[96:97], v[108:109], v[112:113]
	v_mul_f64 v[98:99], v[116:117], s[6:7]
	v_fma_f64 v[128:129], v[102:103], 0.5, v[98:99]
	v_mul_f64 v[98:99], v[106:107], -0.5
	v_mul_f64 v[102:103], v[102:103], s[0:1]
	v_add_f64 v[100:101], v[110:111], v[128:129]
	v_fma_f64 v[132:133], v[118:119], s[6:7], v[98:99]
	v_fma_f64 v[136:137], v[116:117], 0.5, v[102:103]
	v_mul_f64 v[116:117], v[118:119], -0.5
	v_add_f64 v[98:99], v[218:219], v[164:165]
	v_add_f64 v[118:119], v[218:219], -v[164:165]
	v_add_f64 v[104:105], v[114:115], v[132:133]
	v_add_f64 v[102:103], v[196:197], v[136:137]
	v_fma_f64 v[204:205], v[106:107], s[0:1], v[116:117]
	v_add_f64 v[116:117], v[108:109], -v[112:113]
	v_add_f64 v[108:109], v[114:115], -v[132:133]
	v_add_f64 v[132:133], v[130:131], v[138:139]
	v_add_f64 v[112:113], v[110:111], -v[128:129]
	v_add_f64 v[128:129], v[92:93], v[130:131]
	;; [unrolled: 2-line block ×3, first 2 shown]
	v_add_f64 v[110:111], v[200:201], -v[204:205]
	v_fma_f64 v[92:93], v[132:133], -0.5, v[92:93]
	v_add_f64 v[132:133], v[134:135], -v[166:167]
	v_add_f64 v[128:129], v[128:129], v[138:139]
	v_fma_f64 v[164:165], v[132:133], s[6:7], v[92:93]
	v_fma_f64 v[196:197], v[132:133], s[0:1], v[92:93]
	v_add_f64 v[92:93], v[94:95], v[134:135]
	v_add_f64 v[200:201], v[92:93], v[166:167]
	v_add_f64 v[92:93], v[134:135], v[166:167]
	v_fma_f64 v[92:93], v[92:93], -0.5, v[94:95]
	v_add_f64 v[94:95], v[130:131], -v[138:139]
	v_fma_f64 v[130:131], v[94:95], s[0:1], v[92:93]
	v_fma_f64 v[166:167], v[94:95], s[6:7], v[92:93]
	v_add_f64 v[92:93], v[126:127], v[122:123]
	v_add_f64 v[94:95], v[124:125], -v[202:203]
	v_add_f64 v[132:133], v[92:93], v[198:199]
	v_add_f64 v[92:93], v[122:123], v[198:199]
	v_fma_f64 v[92:93], v[92:93], -0.5, v[126:127]
	v_fma_f64 v[126:127], v[94:95], s[6:7], v[92:93]
	v_fma_f64 v[134:135], v[94:95], s[0:1], v[92:93]
	v_add_f64 v[92:93], v[120:121], v[124:125]
	v_add_f64 v[94:95], v[122:123], -v[198:199]
	v_add_f64 v[138:139], v[92:93], v[202:203]
	v_add_f64 v[92:93], v[124:125], v[202:203]
	v_fma_f64 v[92:93], v[92:93], -0.5, v[120:121]
	v_fma_f64 v[122:123], v[94:95], s[0:1], v[92:93]
	v_fma_f64 v[136:137], v[94:95], s[6:7], v[92:93]
	v_add_f64 v[92:93], v[128:129], v[132:133]
	v_mul_f64 v[94:95], v[122:123], s[6:7]
	v_fma_f64 v[198:199], v[126:127], 0.5, v[94:95]
	v_mul_f64 v[126:127], v[126:127], s[0:1]
	v_mul_f64 v[94:95], v[134:135], -0.5
	v_add_f64 v[120:121], v[164:165], v[198:199]
	v_fma_f64 v[204:205], v[122:123], 0.5, v[126:127]
	v_mul_f64 v[126:127], v[136:137], -0.5
	v_fma_f64 v[202:203], v[136:137], s[6:7], v[94:95]
	v_add_f64 v[136:137], v[128:129], -v[132:133]
	v_add_f64 v[132:133], v[164:165], -v[198:199]
	v_add_f64 v[164:165], v[88:89], v[168:169]
	v_add_f64 v[94:95], v[200:201], v[138:139]
	v_add_f64 v[138:139], v[200:201], -v[138:139]
	v_add_f64 v[122:123], v[130:131], v[204:205]
	v_fma_f64 v[206:207], v[134:135], s[0:1], v[126:127]
	v_add_f64 v[134:135], v[130:131], -v[204:205]
	v_add_f64 v[124:125], v[196:197], v[202:203]
	v_add_f64 v[128:129], v[196:197], -v[202:203]
	v_add_f64 v[164:165], v[164:165], v[172:173]
	v_add_f64 v[126:127], v[166:167], v[206:207]
	v_add_f64 v[130:131], v[166:167], -v[206:207]
	v_add_f64 v[166:167], v[168:169], v[172:173]
	v_add_f64 v[168:169], v[168:169], -v[172:173]
	v_add_f64 v[172:173], v[150:151], v[156:157]
	v_fma_f64 v[88:89], v[166:167], -0.5, v[88:89]
	v_add_f64 v[166:167], v[170:171], -v[174:175]
	v_fma_f64 v[196:197], v[166:167], s[6:7], v[88:89]
	v_fma_f64 v[88:89], v[166:167], s[0:1], v[88:89]
	v_add_f64 v[166:167], v[90:91], v[170:171]
	v_add_f64 v[170:171], v[170:171], v[174:175]
	;; [unrolled: 1-line block ×3, first 2 shown]
	v_fma_f64 v[90:91], v[170:171], -0.5, v[90:91]
	v_fma_f64 v[170:171], v[168:169], s[0:1], v[90:91]
	v_fma_f64 v[90:91], v[168:169], s[6:7], v[90:91]
	v_add_f64 v[168:169], v[154:155], v[150:151]
	v_fma_f64 v[154:155], v[172:173], -0.5, v[154:155]
	v_add_f64 v[172:173], v[152:153], -v[158:159]
	v_add_f64 v[150:151], v[150:151], -v[156:157]
	v_add_f64 v[168:169], v[168:169], v[156:157]
	v_fma_f64 v[174:175], v[172:173], s[6:7], v[154:155]
	v_fma_f64 v[172:173], v[172:173], s[0:1], v[154:155]
	v_add_f64 v[154:155], v[148:149], v[152:153]
	v_add_f64 v[152:153], v[152:153], v[158:159]
	;; [unrolled: 1-line block ×3, first 2 shown]
	v_fma_f64 v[148:149], v[152:153], -0.5, v[148:149]
	v_fma_f64 v[154:155], v[150:151], s[0:1], v[148:149]
	v_fma_f64 v[158:159], v[150:151], s[6:7], v[148:149]
	v_add_f64 v[148:149], v[164:165], v[168:169]
	v_mul_f64 v[150:151], v[154:155], s[6:7]
	v_fma_f64 v[200:201], v[174:175], 0.5, v[150:151]
	v_mul_f64 v[150:151], v[172:173], -0.5
	v_mul_f64 v[174:175], v[174:175], s[0:1]
	v_add_f64 v[152:153], v[196:197], v[200:201]
	v_fma_f64 v[202:203], v[158:159], s[6:7], v[150:151]
	v_mul_f64 v[158:159], v[158:159], -0.5
	v_add_f64 v[150:151], v[166:167], v[198:199]
	v_fma_f64 v[204:205], v[154:155], 0.5, v[174:175]
	v_add_f64 v[174:175], v[166:167], -v[198:199]
	v_add_f64 v[156:157], v[88:89], v[202:203]
	v_fma_f64 v[206:207], v[172:173], s[0:1], v[158:159]
	v_add_f64 v[172:173], v[164:165], -v[168:169]
	v_add_f64 v[164:165], v[88:89], -v[202:203]
	v_add_f64 v[88:89], v[0:1], v[192:193]
	v_add_f64 v[168:169], v[196:197], -v[200:201]
	v_add_f64 v[154:155], v[170:171], v[204:205]
	;; [unrolled: 2-line block ×5, first 2 shown]
	v_fma_f64 v[0:1], v[90:91], -0.5, v[0:1]
	v_add_f64 v[90:91], v[194:195], -v[254:255]
	v_fma_f64 v[198:199], v[90:91], s[6:7], v[0:1]
	v_fma_f64 v[0:1], v[90:91], s[0:1], v[0:1]
	v_add_f64 v[90:91], v[2:3], v[194:195]
	v_add_f64 v[194:195], v[194:195], v[254:255]
	;; [unrolled: 1-line block ×3, first 2 shown]
	v_fma_f64 v[2:3], v[194:195], -0.5, v[2:3]
	v_fma_f64 v[202:203], v[192:193], s[0:1], v[2:3]
	v_fma_f64 v[2:3], v[192:193], s[6:7], v[2:3]
	v_add_f64 v[192:193], v[186:187], v[180:181]
	v_add_f64 v[196:197], v[192:193], v[188:189]
	;; [unrolled: 1-line block ×3, first 2 shown]
	v_add_f64 v[180:181], v[180:181], -v[188:189]
	v_fma_f64 v[186:187], v[192:193], -0.5, v[186:187]
	v_add_f64 v[192:193], v[184:185], -v[190:191]
	v_fma_f64 v[194:195], v[192:193], s[6:7], v[186:187]
	v_fma_f64 v[200:201], v[192:193], s[0:1], v[186:187]
	v_add_f64 v[186:187], v[162:163], v[184:185]
	v_add_f64 v[184:185], v[184:185], v[190:191]
	;; [unrolled: 1-line block ×3, first 2 shown]
	v_fma_f64 v[162:163], v[184:185], -0.5, v[162:163]
	v_mul_f64 v[186:187], v[200:201], -0.5
	v_add_f64 v[184:185], v[88:89], v[196:197]
	v_add_f64 v[196:197], v[88:89], -v[196:197]
	v_add_f64 v[88:89], v[144:145], -v[210:211]
	v_fma_f64 v[190:191], v[180:181], s[0:1], v[162:163]
	v_fma_f64 v[162:163], v[180:181], s[6:7], v[162:163]
	v_mul_f64 v[180:181], v[190:191], s[6:7]
	v_fma_f64 v[204:205], v[162:163], s[6:7], v[186:187]
	v_mul_f64 v[162:163], v[162:163], -0.5
	v_add_f64 v[186:187], v[90:91], v[206:207]
	v_fma_f64 v[180:181], v[194:195], 0.5, v[180:181]
	v_mul_f64 v[194:195], v[194:195], s[0:1]
	v_fma_f64 v[162:163], v[200:201], s[0:1], v[162:163]
	v_add_f64 v[192:193], v[0:1], v[204:205]
	v_add_f64 v[204:205], v[0:1], -v[204:205]
	v_add_f64 v[0:1], v[84:85], v[160:161]
	v_add_f64 v[188:189], v[198:199], v[180:181]
	v_fma_f64 v[218:219], v[190:191], 0.5, v[194:195]
	v_add_f64 v[194:195], v[2:3], v[162:163]
	v_add_f64 v[200:201], v[198:199], -v[180:181]
	v_add_f64 v[198:199], v[90:91], -v[206:207]
	;; [unrolled: 1-line block ×3, first 2 shown]
	v_add_f64 v[2:3], v[160:161], v[178:179]
	v_add_f64 v[0:1], v[0:1], v[178:179]
	v_add_f64 v[90:91], v[142:143], -v[208:209]
	v_add_f64 v[190:191], v[202:203], v[218:219]
	v_add_f64 v[202:203], v[202:203], -v[218:219]
	v_fma_f64 v[2:3], v[2:3], -0.5, v[84:85]
	v_add_f64 v[84:85], v[176:177], -v[182:183]
	v_fma_f64 v[162:163], v[84:85], s[6:7], v[2:3]
	v_fma_f64 v[2:3], v[84:85], s[0:1], v[2:3]
	v_add_f64 v[84:85], v[86:87], v[176:177]
	v_add_f64 v[180:181], v[84:85], v[182:183]
	;; [unrolled: 1-line block ×3, first 2 shown]
	v_fma_f64 v[84:85], v[84:85], -0.5, v[86:87]
	v_add_f64 v[86:87], v[160:161], -v[178:179]
	v_fma_f64 v[176:177], v[86:87], s[0:1], v[84:85]
	v_fma_f64 v[178:179], v[86:87], s[6:7], v[84:85]
	v_add_f64 v[86:87], v[142:143], v[208:209]
	v_add_f64 v[84:85], v[146:147], v[142:143]
	v_fma_f64 v[86:87], v[86:87], -0.5, v[146:147]
	v_add_f64 v[84:85], v[84:85], v[208:209]
	v_fma_f64 v[146:147], v[88:89], s[6:7], v[86:87]
	v_fma_f64 v[86:87], v[88:89], s[0:1], v[86:87]
	v_add_f64 v[88:89], v[140:141], v[144:145]
	v_add_f64 v[182:183], v[88:89], v[210:211]
	;; [unrolled: 1-line block ×3, first 2 shown]
	v_fma_f64 v[88:89], v[88:89], -0.5, v[140:141]
	v_fma_f64 v[142:143], v[90:91], s[0:1], v[88:89]
	v_fma_f64 v[160:161], v[90:91], s[6:7], v[88:89]
	v_add_f64 v[88:89], v[0:1], v[84:85]
	v_mul_f64 v[90:91], v[142:143], s[6:7]
	v_fma_f64 v[208:209], v[146:147], 0.5, v[90:91]
	v_mul_f64 v[146:147], v[146:147], s[0:1]
	v_mul_f64 v[90:91], v[86:87], -0.5
	v_add_f64 v[140:141], v[162:163], v[208:209]
	v_fma_f64 v[218:219], v[142:143], 0.5, v[146:147]
	v_mul_f64 v[146:147], v[160:161], -0.5
	v_fma_f64 v[210:211], v[160:161], s[6:7], v[90:91]
	v_add_f64 v[160:161], v[0:1], -v[84:85]
	v_add_f64 v[84:85], v[162:163], -v[208:209]
	v_add_f64 v[90:91], v[180:181], v[182:183]
	v_add_f64 v[162:163], v[180:181], -v[182:183]
	s_mov_b32 s6, 0x372fe950
	s_mov_b32 s7, 0x3fd3c6ef
	;; [unrolled: 1-line block ×3, first 2 shown]
	v_add_f64 v[142:143], v[176:177], v[218:219]
	v_fma_f64 v[252:253], v[86:87], s[0:1], v[146:147]
	v_add_f64 v[86:87], v[176:177], -v[218:219]
	v_add_f64 v[144:145], v[2:3], v[210:211]
	v_add_f64 v[0:1], v[2:3], -v[210:211]
	s_mov_b32 s1, 0x3fee6f0e
	s_mov_b32 s0, s12
	v_add_f64 v[146:147], v[178:179], v[252:253]
	v_add_f64 v[2:3], v[178:179], -v[252:253]
	ds_write_b128 v231, v[96:99]
	ds_write_b128 v213, v[100:103] offset:1280
	ds_write_b128 v213, v[104:107] offset:2560
	;; [unrolled: 1-line block ×29, first 2 shown]
	s_waitcnt lgkmcnt(0)
	s_barrier
	buffer_gl0_inv
	global_load_dwordx4 v[84:87], v217, s[4:5]
	ds_read_b128 v[0:3], v231
	s_waitcnt vmcnt(0) lgkmcnt(0)
	v_mul_f64 v[88:89], v[2:3], v[86:87]
	v_fma_f64 v[88:89], v[0:1], v[84:85], -v[88:89]
	v_mul_f64 v[0:1], v[0:1], v[86:87]
	v_fma_f64 v[90:91], v[2:3], v[84:85], v[0:1]
	global_load_dwordx4 v[84:87], v217, s[4:5] offset:768
	ds_write_b128 v231, v[88:91]
	ds_read_b128 v[0:3], v213 offset:768
	s_waitcnt vmcnt(0) lgkmcnt(0)
	v_mul_f64 v[88:89], v[2:3], v[86:87]
	v_fma_f64 v[88:89], v[0:1], v[84:85], -v[88:89]
	v_mul_f64 v[0:1], v[0:1], v[86:87]
	v_fma_f64 v[90:91], v[2:3], v[84:85], v[0:1]
	global_load_dwordx4 v[84:87], v217, s[4:5] offset:1536
	ds_read_b128 v[0:3], v213 offset:1536
	ds_write_b128 v213, v[88:91] offset:768
	s_waitcnt vmcnt(0) lgkmcnt(1)
	v_mul_f64 v[88:89], v[2:3], v[86:87]
	v_fma_f64 v[88:89], v[0:1], v[84:85], -v[88:89]
	v_mul_f64 v[0:1], v[0:1], v[86:87]
	v_fma_f64 v[90:91], v[2:3], v[84:85], v[0:1]
	buffer_load_dword v84, off, s[24:27], 0 offset:932 ; 4-byte Folded Reload
	ds_read_b128 v[0:3], v213 offset:2304
	ds_write_b128 v213, v[88:91] offset:1536
	s_waitcnt vmcnt(0)
	global_load_dwordx4 v[84:87], v84, s[4:5]
	s_waitcnt vmcnt(0) lgkmcnt(1)
	v_mul_f64 v[88:89], v[2:3], v[86:87]
	v_fma_f64 v[88:89], v[0:1], v[84:85], -v[88:89]
	v_mul_f64 v[0:1], v[0:1], v[86:87]
	v_fma_f64 v[90:91], v[2:3], v[84:85], v[0:1]
	buffer_load_dword v84, off, s[24:27], 0 offset:924 ; 4-byte Folded Reload
	ds_read_b128 v[0:3], v213 offset:3072
	ds_write_b128 v213, v[88:91] offset:2304
	s_waitcnt vmcnt(0)
	global_load_dwordx4 v[84:87], v84, s[4:5]
	;; [unrolled: 10-line block ×7, first 2 shown]
	s_waitcnt vmcnt(0) lgkmcnt(1)
	v_mul_f64 v[88:89], v[2:3], v[86:87]
	v_fma_f64 v[88:89], v[0:1], v[84:85], -v[88:89]
	v_mul_f64 v[0:1], v[0:1], v[86:87]
	v_fma_f64 v[90:91], v[2:3], v[84:85], v[0:1]
	global_load_dwordx4 v[84:87], v217, s[4:5] offset:256
	ds_read_b128 v[0:3], v213 offset:256
	ds_write_b128 v213, v[88:91] offset:6912
	s_waitcnt vmcnt(0) lgkmcnt(1)
	v_mul_f64 v[88:89], v[2:3], v[86:87]
	v_fma_f64 v[88:89], v[0:1], v[84:85], -v[88:89]
	v_mul_f64 v[0:1], v[0:1], v[86:87]
	v_fma_f64 v[90:91], v[2:3], v[84:85], v[0:1]
	global_load_dwordx4 v[84:87], v217, s[4:5] offset:1024
	ds_read_b128 v[0:3], v213 offset:1024
	ds_write_b128 v213, v[88:91] offset:256
	;; [unrolled: 8-line block ×3, first 2 shown]
	s_waitcnt vmcnt(0) lgkmcnt(1)
	v_mul_f64 v[88:89], v[2:3], v[86:87]
	v_fma_f64 v[88:89], v[0:1], v[84:85], -v[88:89]
	v_mul_f64 v[0:1], v[0:1], v[86:87]
	v_fma_f64 v[90:91], v[2:3], v[84:85], v[0:1]
	buffer_load_dword v84, off, s[24:27], 0 offset:964 ; 4-byte Folded Reload
	ds_read_b128 v[0:3], v213 offset:2560
	ds_write_b128 v213, v[88:91] offset:1792
	s_waitcnt vmcnt(0)
	global_load_dwordx4 v[84:87], v84, s[4:5]
	s_waitcnt vmcnt(0) lgkmcnt(1)
	v_mul_f64 v[88:89], v[2:3], v[86:87]
	v_fma_f64 v[88:89], v[0:1], v[84:85], -v[88:89]
	v_mul_f64 v[0:1], v[0:1], v[86:87]
	v_fma_f64 v[90:91], v[2:3], v[84:85], v[0:1]
	buffer_load_dword v84, off, s[24:27], 0 offset:960 ; 4-byte Folded Reload
	ds_read_b128 v[0:3], v213 offset:3328
	ds_write_b128 v213, v[88:91] offset:2560
	s_waitcnt vmcnt(0)
	global_load_dwordx4 v[84:87], v84, s[4:5]
	s_waitcnt vmcnt(0) lgkmcnt(1)
	v_mul_f64 v[88:89], v[2:3], v[86:87]
	v_fma_f64 v[88:89], v[0:1], v[84:85], -v[88:89]
	v_mul_f64 v[0:1], v[0:1], v[86:87]
	v_fma_f64 v[90:91], v[2:3], v[84:85], v[0:1]
	buffer_load_dword v84, off, s[24:27], 0 offset:956 ; 4-byte Folded Reload
	ds_read_b128 v[0:3], v213 offset:4096
	ds_write_b128 v213, v[88:91] offset:3328
	s_waitcnt vmcnt(0)
	global_load_dwordx4 v[84:87], v84, s[4:5]
	s_waitcnt vmcnt(0) lgkmcnt(1)
	v_mul_f64 v[88:89], v[2:3], v[86:87]
	v_fma_f64 v[88:89], v[0:1], v[84:85], -v[88:89]
	v_mul_f64 v[0:1], v[0:1], v[86:87]
	v_fma_f64 v[90:91], v[2:3], v[84:85], v[0:1]
	buffer_load_dword v84, off, s[24:27], 0 offset:952 ; 4-byte Folded Reload
	ds_read_b128 v[0:3], v213 offset:4864
	ds_write_b128 v213, v[88:91] offset:4096
	s_waitcnt vmcnt(0)
	global_load_dwordx4 v[84:87], v84, s[4:5]
	s_waitcnt vmcnt(0) lgkmcnt(1)
	v_mul_f64 v[88:89], v[2:3], v[86:87]
	v_fma_f64 v[88:89], v[0:1], v[84:85], -v[88:89]
	v_mul_f64 v[0:1], v[0:1], v[86:87]
	v_fma_f64 v[90:91], v[2:3], v[84:85], v[0:1]
	buffer_load_dword v84, off, s[24:27], 0 offset:948 ; 4-byte Folded Reload
	ds_read_b128 v[0:3], v213 offset:5632
	ds_write_b128 v213, v[88:91] offset:4864
	s_waitcnt vmcnt(0)
	global_load_dwordx4 v[84:87], v84, s[4:5]
	s_waitcnt vmcnt(0) lgkmcnt(1)
	v_mul_f64 v[88:89], v[2:3], v[86:87]
	v_fma_f64 v[88:89], v[0:1], v[84:85], -v[88:89]
	v_mul_f64 v[0:1], v[0:1], v[86:87]
	v_fma_f64 v[90:91], v[2:3], v[84:85], v[0:1]
	buffer_load_dword v84, off, s[24:27], 0 offset:944 ; 4-byte Folded Reload
	ds_read_b128 v[0:3], v213 offset:6400
	ds_write_b128 v213, v[88:91] offset:5632
	s_waitcnt vmcnt(0)
	global_load_dwordx4 v[84:87], v84, s[4:5]
	s_waitcnt vmcnt(0) lgkmcnt(1)
	v_mul_f64 v[88:89], v[2:3], v[86:87]
	v_fma_f64 v[88:89], v[0:1], v[84:85], -v[88:89]
	v_mul_f64 v[0:1], v[0:1], v[86:87]
	v_fma_f64 v[90:91], v[2:3], v[84:85], v[0:1]
	buffer_load_dword v84, off, s[24:27], 0 offset:940 ; 4-byte Folded Reload
	ds_read_b128 v[0:3], v213 offset:7168
	ds_write_b128 v213, v[88:91] offset:6400
	s_waitcnt vmcnt(0)
	global_load_dwordx4 v[84:87], v84, s[4:5]
	s_waitcnt vmcnt(0) lgkmcnt(1)
	v_mul_f64 v[88:89], v[2:3], v[86:87]
	v_fma_f64 v[88:89], v[0:1], v[84:85], -v[88:89]
	v_mul_f64 v[0:1], v[0:1], v[86:87]
	v_fma_f64 v[90:91], v[2:3], v[84:85], v[0:1]
	global_load_dwordx4 v[84:87], v217, s[4:5] offset:512
	ds_read_b128 v[0:3], v213 offset:512
	ds_write_b128 v213, v[88:91] offset:7168
	s_waitcnt vmcnt(0) lgkmcnt(1)
	v_mul_f64 v[88:89], v[2:3], v[86:87]
	v_fma_f64 v[88:89], v[0:1], v[84:85], -v[88:89]
	v_mul_f64 v[0:1], v[0:1], v[86:87]
	v_fma_f64 v[90:91], v[2:3], v[84:85], v[0:1]
	global_load_dwordx4 v[84:87], v217, s[4:5] offset:1280
	ds_read_b128 v[0:3], v213 offset:1280
	ds_write_b128 v213, v[88:91] offset:512
	s_waitcnt vmcnt(0) lgkmcnt(1)
	v_mul_f64 v[88:89], v[2:3], v[86:87]
	v_fma_f64 v[88:89], v[0:1], v[84:85], -v[88:89]
	v_mul_f64 v[0:1], v[0:1], v[86:87]
	v_fma_f64 v[90:91], v[2:3], v[84:85], v[0:1]
	buffer_load_dword v84, off, s[24:27], 0 offset:936 ; 4-byte Folded Reload
	ds_read_b128 v[0:3], v213 offset:2048
	ds_write_b128 v213, v[88:91] offset:1280
	s_waitcnt vmcnt(0)
	global_load_dwordx4 v[84:87], v84, s[4:5]
	s_waitcnt vmcnt(0) lgkmcnt(1)
	v_mul_f64 v[88:89], v[2:3], v[86:87]
	v_fma_f64 v[88:89], v[0:1], v[84:85], -v[88:89]
	v_mul_f64 v[0:1], v[0:1], v[86:87]
	v_fma_f64 v[90:91], v[2:3], v[84:85], v[0:1]
	buffer_load_dword v84, off, s[24:27], 0 offset:920 ; 4-byte Folded Reload
	ds_read_b128 v[0:3], v213 offset:2816
	ds_write_b128 v213, v[88:91] offset:2048
	s_waitcnt vmcnt(0)
	global_load_dwordx4 v[84:87], v84, s[4:5]
	;; [unrolled: 10-line block ×8, first 2 shown]
	s_mov_b32 s5, 0x3fe2cf23
	s_mov_b32 s4, s14
	s_waitcnt vmcnt(0) lgkmcnt(1)
	v_mul_f64 v[88:89], v[2:3], v[86:87]
	v_fma_f64 v[88:89], v[0:1], v[84:85], -v[88:89]
	v_mul_f64 v[0:1], v[0:1], v[86:87]
	v_fma_f64 v[90:91], v[2:3], v[84:85], v[0:1]
	ds_write_b128 v213, v[88:91] offset:7424
	s_waitcnt lgkmcnt(0)
	s_barrier
	buffer_gl0_inv
	ds_read_b128 v[128:131], v231
	ds_read_b128 v[108:111], v213 offset:768
	ds_read_b128 v[132:135], v213 offset:1536
	;; [unrolled: 1-line block ×29, first 2 shown]
	s_waitcnt lgkmcnt(23)
	v_add_f64 v[202:203], v[136:137], v[152:153]
	s_waitcnt lgkmcnt(21)
	v_add_f64 v[204:205], v[134:135], -v[198:199]
	v_add_f64 v[208:209], v[138:139], -v[154:155]
	;; [unrolled: 1-line block ×4, first 2 shown]
	v_add_f64 v[200:201], v[128:129], v[132:133]
	v_add_f64 v[252:253], v[152:153], -v[196:197]
	s_waitcnt lgkmcnt(0)
	s_barrier
	buffer_gl0_inv
	v_fma_f64 v[202:203], v[202:203], -0.5, v[128:129]
	v_add_f64 v[210:211], v[210:211], v[217:218]
	v_add_f64 v[217:218], v[136:137], -v[132:133]
	v_add_f64 v[200:201], v[200:201], v[136:137]
	v_add_f64 v[136:137], v[136:137], -v[152:153]
	v_fma_f64 v[206:207], v[204:205], s[12:13], v[202:203]
	v_fma_f64 v[202:203], v[204:205], s[0:1], v[202:203]
	v_add_f64 v[217:218], v[217:218], v[252:253]
	v_add_f64 v[200:201], v[200:201], v[152:153]
	v_add_f64 v[252:253], v[112:113], -v[116:117]
	v_fma_f64 v[206:207], v[208:209], s[14:15], v[206:207]
	v_fma_f64 v[202:203], v[208:209], s[4:5], v[202:203]
	v_add_f64 v[200:201], v[200:201], v[196:197]
	v_fma_f64 v[206:207], v[210:211], s[6:7], v[206:207]
	v_fma_f64 v[202:203], v[210:211], s[6:7], v[202:203]
	v_add_f64 v[210:211], v[132:133], v[196:197]
	v_add_f64 v[132:133], v[132:133], -v[196:197]
	v_fma_f64 v[128:129], v[210:211], -0.5, v[128:129]
	v_fma_f64 v[210:211], v[208:209], s[0:1], v[128:129]
	v_fma_f64 v[128:129], v[208:209], s[12:13], v[128:129]
	;; [unrolled: 1-line block ×6, first 2 shown]
	v_add_f64 v[128:129], v[130:131], v[134:135]
	v_add_f64 v[217:218], v[198:199], -v[154:155]
	v_add_f64 v[128:129], v[128:129], v[138:139]
	v_add_f64 v[128:129], v[128:129], v[154:155]
	;; [unrolled: 1-line block ×4, first 2 shown]
	v_fma_f64 v[128:129], v[128:129], -0.5, v[130:131]
	v_fma_f64 v[196:197], v[132:133], s[0:1], v[128:129]
	v_fma_f64 v[128:129], v[132:133], s[12:13], v[128:129]
	;; [unrolled: 1-line block ×3, first 2 shown]
	v_add_f64 v[196:197], v[134:135], -v[138:139]
	v_fma_f64 v[128:129], v[136:137], s[14:15], v[128:129]
	v_add_f64 v[196:197], v[196:197], v[217:218]
	v_fma_f64 v[217:218], v[196:197], s[6:7], v[152:153]
	v_fma_f64 v[196:197], v[196:197], s[6:7], v[128:129]
	v_add_f64 v[128:129], v[134:135], v[198:199]
	v_add_f64 v[134:135], v[138:139], -v[134:135]
	v_add_f64 v[138:139], v[154:155], -v[198:199]
	;; [unrolled: 1-line block ×5, first 2 shown]
	v_fma_f64 v[128:129], v[128:129], -0.5, v[130:131]
	v_add_f64 v[134:135], v[134:135], v[138:139]
	v_add_f64 v[154:155], v[154:155], v[198:199]
	v_add_f64 v[198:199], v[124:125], -v[120:121]
	v_fma_f64 v[130:131], v[136:137], s[12:13], v[128:129]
	v_fma_f64 v[128:129], v[136:137], s[0:1], v[128:129]
	v_add_f64 v[198:199], v[198:199], v[252:253]
	v_fma_f64 v[130:131], v[132:133], s[4:5], v[130:131]
	v_fma_f64 v[128:129], v[132:133], s[14:15], v[128:129]
	;; [unrolled: 1-line block ×4, first 2 shown]
	v_add_f64 v[128:129], v[108:109], v[120:121]
	v_add_f64 v[130:131], v[122:123], -v[118:119]
	v_add_f64 v[128:129], v[128:129], v[124:125]
	v_add_f64 v[128:129], v[128:129], v[112:113]
	;; [unrolled: 1-line block ×4, first 2 shown]
	v_add_f64 v[112:113], v[124:125], -v[112:113]
	v_add_f64 v[124:125], v[122:123], -v[126:127]
	v_fma_f64 v[128:129], v[128:129], -0.5, v[108:109]
	v_fma_f64 v[136:137], v[130:131], s[12:13], v[128:129]
	v_fma_f64 v[128:129], v[130:131], s[0:1], v[128:129]
	;; [unrolled: 1-line block ×6, first 2 shown]
	v_add_f64 v[128:129], v[120:121], v[116:117]
	v_add_f64 v[116:117], v[120:121], -v[116:117]
	v_fma_f64 v[108:109], v[128:129], -0.5, v[108:109]
	v_fma_f64 v[128:129], v[152:153], s[0:1], v[108:109]
	v_fma_f64 v[108:109], v[152:153], s[12:13], v[108:109]
	;; [unrolled: 1-line block ×6, first 2 shown]
	v_add_f64 v[108:109], v[110:111], v[122:123]
	v_add_f64 v[128:129], v[118:119], -v[114:115]
	v_add_f64 v[108:109], v[108:109], v[126:127]
	v_add_f64 v[124:125], v[124:125], v[128:129]
	;; [unrolled: 1-line block ×5, first 2 shown]
	v_add_f64 v[114:115], v[114:115], -v[118:119]
	v_fma_f64 v[108:109], v[108:109], -0.5, v[110:111]
	v_fma_f64 v[120:121], v[116:117], s[0:1], v[108:109]
	v_fma_f64 v[108:109], v[116:117], s[12:13], v[108:109]
	;; [unrolled: 1-line block ×6, first 2 shown]
	v_add_f64 v[108:109], v[122:123], v[118:119]
	v_add_f64 v[120:121], v[126:127], -v[122:123]
	v_fma_f64 v[108:109], v[108:109], -0.5, v[110:111]
	v_add_f64 v[114:115], v[120:121], v[114:115]
	v_fma_f64 v[110:111], v[112:113], s[12:13], v[108:109]
	v_fma_f64 v[108:109], v[112:113], s[0:1], v[108:109]
	;; [unrolled: 1-line block ×5, first 2 shown]
	v_mul_f64 v[110:111], v[152:153], s[14:15]
	v_fma_f64 v[122:123], v[114:115], s[6:7], v[108:109]
	v_mul_f64 v[114:115], v[136:137], s[4:5]
	v_add_f64 v[108:109], v[200:201], v[132:133]
	v_fma_f64 v[126:127], v[136:137], s[16:17], v[110:111]
	v_mul_f64 v[110:111], v[118:119], s[12:13]
	v_fma_f64 v[223:224], v[152:153], s[16:17], v[114:115]
	v_mul_f64 v[118:119], v[118:119], s[6:7]
	v_add_f64 v[152:153], v[200:201], -v[132:133]
	v_add_f64 v[200:201], v[178:179], -v[194:195]
	v_add_f64 v[112:113], v[206:207], v[126:127]
	v_fma_f64 v[254:255], v[252:253], s[6:7], v[110:111]
	v_mul_f64 v[110:111], v[122:123], s[12:13]
	v_fma_f64 v[225:226], v[252:253], s[0:1], v[118:119]
	v_add_f64 v[252:253], v[206:207], -v[126:127]
	v_add_f64 v[206:207], v[176:177], -v[184:185]
	v_mul_f64 v[122:123], v[122:123], s[18:19]
	v_add_f64 v[114:115], v[217:218], v[223:224]
	v_add_f64 v[116:117], v[210:211], v[254:255]
	v_fma_f64 v[219:220], v[130:131], s[18:19], v[110:111]
	v_mul_f64 v[110:111], v[124:125], s[14:15]
	v_mul_f64 v[124:125], v[124:125], s[20:21]
	v_add_f64 v[136:137], v[210:211], -v[254:255]
	v_fma_f64 v[227:228], v[130:131], s[0:1], v[122:123]
	v_add_f64 v[210:211], v[188:189], -v[192:193]
	v_add_f64 v[254:255], v[217:218], -v[223:224]
	v_add_f64 v[118:119], v[138:139], v[225:226]
	v_add_f64 v[138:139], v[138:139], -v[225:226]
	v_add_f64 v[120:121], v[204:205], v[219:220]
	v_fma_f64 v[221:222], v[154:155], s[20:21], v[110:111]
	v_add_f64 v[110:111], v[208:209], v[198:199]
	v_fma_f64 v[229:230], v[154:155], s[4:5], v[124:125]
	v_add_f64 v[154:155], v[208:209], -v[198:199]
	v_add_f64 v[198:199], v[184:185], v[188:189]
	v_add_f64 v[132:133], v[204:205], -v[219:220]
	v_add_f64 v[204:205], v[186:187], -v[190:191]
	v_add_f64 v[208:209], v[192:193], -v[188:189]
	v_add_f64 v[122:123], v[134:135], v[227:228]
	v_add_f64 v[134:135], v[134:135], -v[227:228]
	v_add_f64 v[128:129], v[202:203], v[221:222]
	v_add_f64 v[124:125], v[202:203], -v[221:222]
	;; [unrolled: 2-line block ×3, first 2 shown]
	v_fma_f64 v[198:199], v[198:199], -0.5, v[180:181]
	v_add_f64 v[196:197], v[180:181], v[176:177]
	v_add_f64 v[206:207], v[206:207], v[208:209]
	v_add_f64 v[208:209], v[184:185], -v[176:177]
	v_fma_f64 v[202:203], v[200:201], s[12:13], v[198:199]
	v_fma_f64 v[198:199], v[200:201], s[0:1], v[198:199]
	v_add_f64 v[196:197], v[196:197], v[184:185]
	v_add_f64 v[184:185], v[184:185], -v[188:189]
	v_add_f64 v[208:209], v[208:209], v[210:211]
	v_fma_f64 v[202:203], v[204:205], s[14:15], v[202:203]
	v_fma_f64 v[198:199], v[204:205], s[4:5], v[198:199]
	v_add_f64 v[196:197], v[196:197], v[188:189]
	v_fma_f64 v[202:203], v[206:207], s[6:7], v[202:203]
	v_fma_f64 v[198:199], v[206:207], s[6:7], v[198:199]
	v_add_f64 v[206:207], v[176:177], v[192:193]
	v_add_f64 v[176:177], v[176:177], -v[192:193]
	v_add_f64 v[196:197], v[196:197], v[192:193]
	v_fma_f64 v[180:181], v[206:207], -0.5, v[180:181]
	v_fma_f64 v[206:207], v[204:205], s[0:1], v[180:181]
	v_fma_f64 v[180:181], v[204:205], s[12:13], v[180:181]
	;; [unrolled: 1-line block ×6, first 2 shown]
	v_add_f64 v[180:181], v[182:183], v[178:179]
	v_add_f64 v[208:209], v[194:195], -v[190:191]
	v_add_f64 v[180:181], v[180:181], v[186:187]
	v_add_f64 v[180:181], v[180:181], v[190:191]
	;; [unrolled: 1-line block ×4, first 2 shown]
	v_fma_f64 v[180:181], v[180:181], -0.5, v[182:183]
	v_fma_f64 v[192:193], v[176:177], s[0:1], v[180:181]
	v_fma_f64 v[180:181], v[176:177], s[12:13], v[180:181]
	v_fma_f64 v[188:189], v[184:185], s[4:5], v[192:193]
	v_add_f64 v[192:193], v[178:179], -v[186:187]
	v_fma_f64 v[180:181], v[184:185], s[14:15], v[180:181]
	v_add_f64 v[192:193], v[192:193], v[208:209]
	v_fma_f64 v[210:211], v[192:193], s[6:7], v[180:181]
	v_add_f64 v[180:181], v[178:179], v[194:195]
	v_add_f64 v[178:179], v[186:187], -v[178:179]
	v_add_f64 v[186:187], v[190:191], -v[194:195]
	v_fma_f64 v[208:209], v[192:193], s[6:7], v[188:189]
	v_add_f64 v[188:189], v[172:173], -v[168:169]
	v_fma_f64 v[180:181], v[180:181], -0.5, v[182:183]
	v_add_f64 v[178:179], v[178:179], v[186:187]
	v_add_f64 v[186:187], v[156:157], -v[164:165]
	v_fma_f64 v[182:183], v[184:185], s[12:13], v[180:181]
	v_fma_f64 v[180:181], v[184:185], s[0:1], v[180:181]
	v_add_f64 v[184:185], v[166:167], -v[170:171]
	v_add_f64 v[186:187], v[186:187], v[188:189]
	v_add_f64 v[188:189], v[168:169], -v[172:173]
	v_fma_f64 v[182:183], v[176:177], s[4:5], v[182:183]
	v_fma_f64 v[176:177], v[176:177], s[14:15], v[180:181]
	;; [unrolled: 1-line block ×4, first 2 shown]
	v_add_f64 v[176:177], v[160:161], v[156:157]
	v_add_f64 v[178:179], v[158:159], -v[174:175]
	v_add_f64 v[176:177], v[176:177], v[164:165]
	v_add_f64 v[176:177], v[176:177], v[168:169]
	;; [unrolled: 1-line block ×4, first 2 shown]
	v_fma_f64 v[176:177], v[176:177], -0.5, v[160:161]
	v_fma_f64 v[182:183], v[178:179], s[12:13], v[176:177]
	v_fma_f64 v[176:177], v[178:179], s[0:1], v[176:177]
	;; [unrolled: 1-line block ×6, first 2 shown]
	v_add_f64 v[176:177], v[156:157], v[172:173]
	v_add_f64 v[186:187], v[164:165], -v[156:157]
	v_add_f64 v[156:157], v[156:157], -v[172:173]
	;; [unrolled: 1-line block ×3, first 2 shown]
	v_fma_f64 v[160:161], v[176:177], -0.5, v[160:161]
	v_add_f64 v[186:187], v[186:187], v[188:189]
	v_add_f64 v[188:189], v[196:197], v[180:181]
	v_fma_f64 v[176:177], v[184:185], s[0:1], v[160:161]
	v_fma_f64 v[160:161], v[184:185], s[12:13], v[160:161]
	;; [unrolled: 1-line block ×4, first 2 shown]
	v_add_f64 v[178:179], v[174:175], -v[170:171]
	v_fma_f64 v[194:195], v[186:187], s[6:7], v[176:177]
	v_add_f64 v[176:177], v[162:163], v[158:159]
	v_fma_f64 v[160:161], v[186:187], s[6:7], v[160:161]
	v_add_f64 v[176:177], v[176:177], v[166:167]
	v_add_f64 v[176:177], v[176:177], v[170:171]
	;; [unrolled: 1-line block ×5, first 2 shown]
	v_fma_f64 v[176:177], v[176:177], -0.5, v[162:163]
	v_fma_f64 v[172:173], v[156:157], s[0:1], v[176:177]
	v_fma_f64 v[176:177], v[156:157], s[12:13], v[176:177]
	;; [unrolled: 1-line block ×3, first 2 shown]
	v_add_f64 v[172:173], v[158:159], -v[166:167]
	v_fma_f64 v[176:177], v[164:165], s[14:15], v[176:177]
	v_add_f64 v[172:173], v[172:173], v[178:179]
	v_fma_f64 v[168:169], v[172:173], s[6:7], v[168:169]
	v_fma_f64 v[223:224], v[172:173], s[6:7], v[176:177]
	v_add_f64 v[172:173], v[158:159], v[174:175]
	v_add_f64 v[158:159], v[166:167], -v[158:159]
	v_add_f64 v[166:167], v[170:171], -v[174:175]
	v_mul_f64 v[174:175], v[182:183], s[4:5]
	v_fma_f64 v[162:163], v[172:173], -0.5, v[162:163]
	v_add_f64 v[158:159], v[158:159], v[166:167]
	v_fma_f64 v[172:173], v[164:165], s[12:13], v[162:163]
	v_fma_f64 v[162:163], v[164:165], s[0:1], v[162:163]
	;; [unrolled: 1-line block ×6, first 2 shown]
	v_mul_f64 v[158:159], v[168:169], s[14:15]
	v_mul_f64 v[162:163], v[166:167], s[12:13]
	;; [unrolled: 1-line block ×4, first 2 shown]
	v_fma_f64 v[158:159], v[182:183], s[16:17], v[158:159]
	v_fma_f64 v[182:183], v[168:169], s[16:17], v[174:175]
	v_mul_f64 v[166:167], v[166:167], s[6:7]
	v_fma_f64 v[162:163], v[194:195], s[6:7], v[162:163]
	v_fma_f64 v[170:171], v[160:161], s[18:19], v[164:165]
	v_mul_f64 v[164:165], v[223:224], s[14:15]
	v_fma_f64 v[229:230], v[160:161], s[0:1], v[156:157]
	v_mul_f64 v[156:157], v[223:224], s[20:21]
	v_add_f64 v[184:185], v[202:203], v[158:159]
	v_add_f64 v[186:187], v[208:209], v[182:183]
	v_fma_f64 v[227:228], v[194:195], s[0:1], v[166:167]
	v_add_f64 v[194:195], v[204:205], -v[221:222]
	v_add_f64 v[182:183], v[208:209], -v[182:183]
	;; [unrolled: 1-line block ×4, first 2 shown]
	v_add_f64 v[176:177], v[206:207], v[162:163]
	v_add_f64 v[172:173], v[200:201], v[170:171]
	v_fma_f64 v[225:226], v[192:193], s[20:21], v[164:165]
	v_add_f64 v[160:161], v[200:201], -v[170:171]
	v_fma_f64 v[223:224], v[192:193], s[4:5], v[156:157]
	v_add_f64 v[200:201], v[102:103], -v[150:151]
	v_add_f64 v[192:193], v[196:197], -v[180:181]
	v_add_f64 v[180:181], v[202:203], -v[158:159]
	v_add_f64 v[168:169], v[206:207], -v[162:163]
	v_add_f64 v[206:207], v[100:101], -v[140:141]
	v_add_f64 v[196:197], v[104:105], v[100:101]
	v_add_f64 v[178:179], v[217:218], v[227:228]
	v_add_f64 v[170:171], v[217:218], -v[227:228]
	v_add_f64 v[174:175], v[219:220], v[229:230]
	v_add_f64 v[162:163], v[219:220], -v[229:230]
	;; [unrolled: 2-line block ×3, first 2 shown]
	v_add_f64 v[198:199], v[140:141], v[144:145]
	v_add_f64 v[166:167], v[210:211], v[223:224]
	v_add_f64 v[158:159], v[210:211], -v[223:224]
	v_add_f64 v[210:211], v[144:145], -v[148:149]
	v_add_f64 v[206:207], v[206:207], v[208:209]
	v_add_f64 v[196:197], v[196:197], v[140:141]
	v_add_f64 v[208:209], v[140:141], -v[100:101]
	v_add_f64 v[140:141], v[140:141], -v[144:145]
	v_fma_f64 v[198:199], v[198:199], -0.5, v[104:105]
	v_add_f64 v[196:197], v[196:197], v[144:145]
	v_add_f64 v[208:209], v[208:209], v[210:211]
	v_fma_f64 v[202:203], v[200:201], s[12:13], v[198:199]
	v_fma_f64 v[198:199], v[200:201], s[0:1], v[198:199]
	v_add_f64 v[196:197], v[196:197], v[148:149]
	v_fma_f64 v[202:203], v[204:205], s[14:15], v[202:203]
	v_fma_f64 v[198:199], v[204:205], s[4:5], v[198:199]
	;; [unrolled: 1-line block ×4, first 2 shown]
	v_add_f64 v[206:207], v[100:101], v[148:149]
	v_add_f64 v[100:101], v[100:101], -v[148:149]
	v_fma_f64 v[104:105], v[206:207], -0.5, v[104:105]
	v_fma_f64 v[206:207], v[204:205], s[0:1], v[104:105]
	v_fma_f64 v[104:105], v[204:205], s[12:13], v[104:105]
	v_add_f64 v[204:205], v[142:143], v[146:147]
	v_fma_f64 v[206:207], v[200:201], s[14:15], v[206:207]
	v_fma_f64 v[104:105], v[200:201], s[4:5], v[104:105]
	v_fma_f64 v[204:205], v[204:205], -0.5, v[106:107]
	v_add_f64 v[200:201], v[106:107], v[102:103]
	v_fma_f64 v[206:207], v[208:209], s[6:7], v[206:207]
	v_fma_f64 v[104:105], v[208:209], s[6:7], v[104:105]
	;; [unrolled: 1-line block ×3, first 2 shown]
	v_add_f64 v[208:209], v[150:151], -v[146:147]
	v_add_f64 v[200:201], v[200:201], v[142:143]
	v_fma_f64 v[144:145], v[140:141], s[4:5], v[148:149]
	v_add_f64 v[148:149], v[102:103], -v[142:143]
	v_add_f64 v[200:201], v[200:201], v[146:147]
	v_add_f64 v[148:149], v[148:149], v[208:209]
	;; [unrolled: 1-line block ×3, first 2 shown]
	v_fma_f64 v[208:209], v[148:149], s[6:7], v[144:145]
	v_fma_f64 v[144:145], v[100:101], s[12:13], v[204:205]
	;; [unrolled: 1-line block ×4, first 2 shown]
	v_add_f64 v[144:145], v[102:103], v[150:151]
	v_add_f64 v[102:103], v[142:143], -v[102:103]
	v_add_f64 v[142:143], v[146:147], -v[150:151]
	;; [unrolled: 1-line block ×5, first 2 shown]
	v_fma_f64 v[106:107], v[144:145], -0.5, v[106:107]
	v_add_f64 v[102:103], v[102:103], v[142:143]
	v_add_f64 v[146:147], v[146:147], v[148:149]
	v_add_f64 v[148:149], v[88:89], -v[0:1]
	v_fma_f64 v[144:145], v[140:141], s[12:13], v[106:107]
	v_fma_f64 v[106:107], v[140:141], s[0:1], v[106:107]
	v_add_f64 v[140:141], v[2:3], -v[98:99]
	v_add_f64 v[148:149], v[148:149], v[150:151]
	v_fma_f64 v[144:145], v[100:101], s[4:5], v[144:145]
	v_fma_f64 v[100:101], v[100:101], s[14:15], v[106:107]
	v_add_f64 v[106:107], v[88:89], v[92:93]
	v_fma_f64 v[210:211], v[102:103], s[6:7], v[144:145]
	v_add_f64 v[144:145], v[90:91], -v[94:95]
	v_fma_f64 v[106:107], v[106:107], -0.5, v[84:85]
	v_fma_f64 v[102:103], v[102:103], s[6:7], v[100:101]
	v_add_f64 v[100:101], v[84:85], v[0:1]
	v_fma_f64 v[142:143], v[140:141], s[12:13], v[106:107]
	v_fma_f64 v[106:107], v[140:141], s[0:1], v[106:107]
	v_add_f64 v[100:101], v[100:101], v[88:89]
	v_add_f64 v[88:89], v[88:89], -v[92:93]
	v_fma_f64 v[142:143], v[144:145], s[14:15], v[142:143]
	v_fma_f64 v[106:107], v[144:145], s[4:5], v[106:107]
	v_add_f64 v[100:101], v[100:101], v[92:93]
	v_fma_f64 v[142:143], v[146:147], s[6:7], v[142:143]
	v_fma_f64 v[106:107], v[146:147], s[6:7], v[106:107]
	v_add_f64 v[146:147], v[0:1], v[96:97]
	v_add_f64 v[0:1], v[0:1], -v[96:97]
	v_add_f64 v[100:101], v[100:101], v[96:97]
	v_fma_f64 v[84:85], v[146:147], -0.5, v[84:85]
	v_fma_f64 v[146:147], v[144:145], s[0:1], v[84:85]
	v_fma_f64 v[84:85], v[144:145], s[12:13], v[84:85]
	v_fma_f64 v[146:147], v[140:141], s[14:15], v[146:147]
	v_fma_f64 v[84:85], v[140:141], s[4:5], v[84:85]
	v_add_f64 v[140:141], v[98:99], -v[94:95]
	v_fma_f64 v[146:147], v[148:149], s[6:7], v[146:147]
	v_fma_f64 v[217:218], v[148:149], s[6:7], v[84:85]
	v_add_f64 v[84:85], v[86:87], v[2:3]
	v_add_f64 v[148:149], v[196:197], v[100:101]
	;; [unrolled: 1-line block ×7, first 2 shown]
	v_fma_f64 v[84:85], v[84:85], -0.5, v[86:87]
	v_fma_f64 v[96:97], v[0:1], s[0:1], v[84:85]
	v_fma_f64 v[84:85], v[0:1], s[12:13], v[84:85]
	;; [unrolled: 1-line block ×3, first 2 shown]
	v_add_f64 v[96:97], v[2:3], -v[90:91]
	v_fma_f64 v[84:85], v[88:89], s[14:15], v[84:85]
	v_add_f64 v[96:97], v[96:97], v[140:141]
	v_fma_f64 v[92:93], v[96:97], s[6:7], v[92:93]
	v_fma_f64 v[96:97], v[96:97], s[6:7], v[84:85]
	v_add_f64 v[84:85], v[2:3], v[98:99]
	v_add_f64 v[2:3], v[90:91], -v[2:3]
	v_add_f64 v[90:91], v[94:95], -v[98:99]
	v_fma_f64 v[84:85], v[84:85], -0.5, v[86:87]
	v_add_f64 v[2:3], v[2:3], v[90:91]
	v_fma_f64 v[86:87], v[88:89], s[12:13], v[84:85]
	v_fma_f64 v[84:85], v[88:89], s[0:1], v[84:85]
	v_fma_f64 v[86:87], v[0:1], s[4:5], v[86:87]
	v_fma_f64 v[0:1], v[0:1], s[14:15], v[84:85]
	v_fma_f64 v[86:87], v[2:3], s[6:7], v[86:87]
	v_fma_f64 v[88:89], v[2:3], s[6:7], v[0:1]
	v_mul_f64 v[0:1], v[92:93], s[14:15]
	v_mul_f64 v[2:3], v[86:87], s[12:13]
	;; [unrolled: 1-line block ×3, first 2 shown]
	v_fma_f64 v[90:91], v[142:143], s[16:17], v[0:1]
	v_fma_f64 v[94:95], v[146:147], s[6:7], v[2:3]
	v_mul_f64 v[2:3], v[88:89], s[12:13]
	v_fma_f64 v[225:226], v[146:147], s[0:1], v[86:87]
	v_mul_f64 v[86:87], v[88:89], s[18:19]
	v_add_f64 v[0:1], v[202:203], v[90:91]
	v_add_f64 v[88:89], v[196:197], -v[100:101]
	v_add_f64 v[144:145], v[206:207], v[94:95]
	v_fma_f64 v[98:99], v[217:218], s[18:19], v[2:3]
	v_mul_f64 v[2:3], v[96:97], s[14:15]
	v_fma_f64 v[217:218], v[217:218], s[0:1], v[86:87]
	v_mul_f64 v[86:87], v[96:97], s[20:21]
	v_add_f64 v[146:147], v[210:211], v[225:226]
	v_add_f64 v[96:97], v[206:207], -v[94:95]
	v_add_f64 v[140:141], v[104:105], v[98:99]
	v_fma_f64 v[221:222], v[106:107], s[20:21], v[2:3]
	v_mul_f64 v[2:3], v[142:143], s[4:5]
	v_fma_f64 v[106:107], v[106:107], s[4:5], v[86:87]
	v_add_f64 v[142:143], v[102:103], v[217:218]
	v_add_f64 v[100:101], v[104:105], -v[98:99]
	v_add_f64 v[98:99], v[210:211], -v[225:226]
	;; [unrolled: 1-line block ×3, first 2 shown]
	v_add_f64 v[84:85], v[198:199], v[221:222]
	v_fma_f64 v[223:224], v[92:93], s[16:17], v[2:3]
	v_add_f64 v[86:87], v[204:205], v[106:107]
	v_add_f64 v[92:93], v[202:203], -v[90:91]
	v_add_f64 v[104:105], v[198:199], -v[221:222]
	;; [unrolled: 1-line block ×4, first 2 shown]
	v_add_f64 v[2:3], v[208:209], v[223:224]
	v_add_f64 v[94:95], v[208:209], -v[223:224]
	ds_write_b128 v216, v[108:111]
	ds_write_b128 v216, v[112:115] offset:16
	ds_write_b128 v216, v[116:119] offset:32
	ds_write_b128 v216, v[120:123] offset:48
	ds_write_b128 v216, v[128:131] offset:64
	ds_write_b128 v216, v[152:155] offset:80
	ds_write_b128 v216, v[252:255] offset:96
	ds_write_b128 v216, v[136:139] offset:112
	ds_write_b128 v216, v[132:135] offset:128
	ds_write_b128 v216, v[124:127] offset:144
	ds_write_b128 v214, v[188:191]
	ds_write_b128 v214, v[184:187] offset:16
	ds_write_b128 v214, v[176:179] offset:32
	ds_write_b128 v214, v[172:175] offset:48
	ds_write_b128 v214, v[164:167] offset:64
	ds_write_b128 v214, v[192:195] offset:80
	ds_write_b128 v214, v[180:183] offset:96
	ds_write_b128 v214, v[168:171] offset:112
	ds_write_b128 v214, v[160:163] offset:128
	ds_write_b128 v214, v[156:159] offset:144
	ds_write_b128 v215, v[148:151]
	ds_write_b128 v215, v[0:3] offset:16
	ds_write_b128 v215, v[144:147] offset:32
	ds_write_b128 v215, v[140:143] offset:48
	ds_write_b128 v215, v[84:87] offset:64
	ds_write_b128 v215, v[88:91] offset:80
	ds_write_b128 v215, v[92:95] offset:96
	ds_write_b128 v215, v[96:99] offset:112
	ds_write_b128 v215, v[100:103] offset:128
	ds_write_b128 v215, v[104:107] offset:144
	s_waitcnt lgkmcnt(0)
	s_barrier
	buffer_gl0_inv
	ds_read_b128 v[112:115], v231
	ds_read_b128 v[184:187], v213 offset:960
	ds_read_b128 v[252:255], v213 offset:1920
	ds_read_b128 v[180:183], v213 offset:2880
	ds_read_b128 v[192:195], v213 offset:3840
	ds_read_b128 v[176:179], v213 offset:4800
	ds_read_b128 v[188:191], v213 offset:5760
	ds_read_b128 v[172:175], v213 offset:6720
	ds_read_b128 v[0:3], v213 offset:256
	ds_read_b128 v[168:171], v213 offset:1216
	ds_read_b128 v[164:167], v213 offset:2176
	ds_read_b128 v[160:163], v213 offset:3136
	ds_read_b128 v[156:159], v213 offset:4096
	ds_read_b128 v[152:155], v213 offset:5056
	ds_read_b128 v[148:151], v213 offset:6016
	ds_read_b128 v[140:143], v213 offset:6976
	ds_read_b128 v[108:111], v213 offset:512
	ds_read_b128 v[144:147], v213 offset:1472
	ds_read_b128 v[136:139], v213 offset:2432
	ds_read_b128 v[132:135], v213 offset:3392
	ds_read_b128 v[128:131], v213 offset:4352
	ds_read_b128 v[116:119], v213 offset:5312
	ds_read_b128 v[124:127], v213 offset:6272
	ds_read_b128 v[120:123], v213 offset:7232
	s_and_saveexec_b32 s0, vcc_lo
	s_cbranch_execz .LBB0_7
; %bb.6:
	ds_read_b128 v[84:87], v213 offset:768
	ds_read_b128 v[88:91], v213 offset:1728
	;; [unrolled: 1-line block ×7, first 2 shown]
	s_waitcnt lgkmcnt(0)
	buffer_store_dword v196, off, s[24:27], 0 offset:20 ; 4-byte Folded Spill
	buffer_store_dword v197, off, s[24:27], 0 offset:24 ; 4-byte Folded Spill
	;; [unrolled: 1-line block ×4, first 2 shown]
	ds_read_b128 v[196:199], v213 offset:7488
	s_waitcnt lgkmcnt(0)
	buffer_store_dword v196, off, s[24:27], 0 offset:4 ; 4-byte Folded Spill
	buffer_store_dword v197, off, s[24:27], 0 offset:8 ; 4-byte Folded Spill
	;; [unrolled: 1-line block ×4, first 2 shown]
.LBB0_7:
	s_or_b32 exec_lo, exec_lo, s0
	s_clause 0x3
	buffer_load_dword v200, off, s[24:27], 0 offset:772
	buffer_load_dword v201, off, s[24:27], 0 offset:776
	;; [unrolled: 1-line block ×4, first 2 shown]
	s_mov_b32 s0, 0x667f3bcd
	s_mov_b32 s1, 0xbfe6a09e
	;; [unrolled: 1-line block ×4, first 2 shown]
	s_waitcnt vmcnt(0) lgkmcnt(21)
	v_mul_f64 v[196:197], v[202:203], v[254:255]
	v_mul_f64 v[198:199], v[202:203], v[252:253]
	s_clause 0x3
	buffer_load_dword v202, off, s[24:27], 0 offset:836
	buffer_load_dword v203, off, s[24:27], 0 offset:840
	;; [unrolled: 1-line block ×4, first 2 shown]
	v_fma_f64 v[196:197], v[200:201], v[252:253], v[196:197]
	v_fma_f64 v[198:199], v[200:201], v[254:255], -v[198:199]
	s_waitcnt vmcnt(0) lgkmcnt(19)
	v_mul_f64 v[200:201], v[204:205], v[194:195]
	v_fma_f64 v[200:201], v[202:203], v[192:193], v[200:201]
	v_mul_f64 v[192:193], v[204:205], v[192:193]
	v_fma_f64 v[192:193], v[202:203], v[194:195], -v[192:193]
	s_clause 0x3
	buffer_load_dword v202, off, s[24:27], 0 offset:852
	buffer_load_dword v203, off, s[24:27], 0 offset:856
	;; [unrolled: 1-line block ×4, first 2 shown]
	v_add_f64 v[192:193], v[114:115], -v[192:193]
	v_fma_f64 v[114:115], v[114:115], 2.0, -v[192:193]
	s_waitcnt vmcnt(0) lgkmcnt(17)
	v_mul_f64 v[194:195], v[204:205], v[190:191]
	v_fma_f64 v[194:195], v[202:203], v[188:189], v[194:195]
	v_mul_f64 v[188:189], v[204:205], v[188:189]
	v_add_f64 v[194:195], v[196:197], -v[194:195]
	v_fma_f64 v[188:189], v[202:203], v[190:191], -v[188:189]
	s_clause 0x3
	buffer_load_dword v202, off, s[24:27], 0 offset:532
	buffer_load_dword v203, off, s[24:27], 0 offset:536
	buffer_load_dword v204, off, s[24:27], 0 offset:540
	buffer_load_dword v205, off, s[24:27], 0 offset:544
	v_fma_f64 v[196:197], v[196:197], 2.0, -v[194:195]
	v_add_f64 v[188:189], v[198:199], -v[188:189]
	v_add_f64 v[194:195], v[192:193], -v[194:195]
	v_fma_f64 v[198:199], v[198:199], 2.0, -v[188:189]
	v_add_f64 v[198:199], v[114:115], -v[198:199]
	s_waitcnt vmcnt(0)
	v_mul_f64 v[190:191], v[204:205], v[186:187]
	v_fma_f64 v[190:191], v[202:203], v[184:185], v[190:191]
	v_mul_f64 v[184:185], v[204:205], v[184:185]
	v_fma_f64 v[184:185], v[202:203], v[186:187], -v[184:185]
	s_clause 0x3
	buffer_load_dword v202, off, s[24:27], 0 offset:548
	buffer_load_dword v203, off, s[24:27], 0 offset:552
	;; [unrolled: 1-line block ×4, first 2 shown]
	s_waitcnt vmcnt(0)
	v_mul_f64 v[186:187], v[204:205], v[182:183]
	v_fma_f64 v[186:187], v[202:203], v[180:181], v[186:187]
	v_mul_f64 v[180:181], v[204:205], v[180:181]
	v_fma_f64 v[180:181], v[202:203], v[182:183], -v[180:181]
	s_clause 0x3
	buffer_load_dword v202, off, s[24:27], 0 offset:612
	buffer_load_dword v203, off, s[24:27], 0 offset:616
	;; [unrolled: 1-line block ×4, first 2 shown]
	s_waitcnt vmcnt(0)
	v_mul_f64 v[182:183], v[204:205], v[178:179]
	v_fma_f64 v[182:183], v[202:203], v[176:177], v[182:183]
	v_mul_f64 v[176:177], v[204:205], v[176:177]
	v_add_f64 v[182:183], v[190:191], -v[182:183]
	v_fma_f64 v[176:177], v[202:203], v[178:179], -v[176:177]
	s_clause 0x3
	buffer_load_dword v202, off, s[24:27], 0 offset:628
	buffer_load_dword v203, off, s[24:27], 0 offset:632
	;; [unrolled: 1-line block ×4, first 2 shown]
	v_fma_f64 v[190:191], v[190:191], 2.0, -v[182:183]
	v_add_f64 v[176:177], v[184:185], -v[176:177]
	v_fma_f64 v[184:185], v[184:185], 2.0, -v[176:177]
	s_waitcnt vmcnt(0) lgkmcnt(16)
	v_mul_f64 v[178:179], v[204:205], v[174:175]
	v_fma_f64 v[178:179], v[202:203], v[172:173], v[178:179]
	v_mul_f64 v[172:173], v[204:205], v[172:173]
	v_add_f64 v[178:179], v[186:187], -v[178:179]
	v_fma_f64 v[172:173], v[202:203], v[174:175], -v[172:173]
	s_clause 0x3
	buffer_load_dword v202, off, s[24:27], 0 offset:580
	buffer_load_dword v203, off, s[24:27], 0 offset:584
	;; [unrolled: 1-line block ×4, first 2 shown]
	v_fma_f64 v[186:187], v[186:187], 2.0, -v[178:179]
	v_add_f64 v[172:173], v[180:181], -v[172:173]
	v_add_f64 v[186:187], v[190:191], -v[186:187]
	v_fma_f64 v[180:181], v[180:181], 2.0, -v[172:173]
	v_add_f64 v[180:181], v[184:185], -v[180:181]
	s_waitcnt vmcnt(0) lgkmcnt(14)
	v_mul_f64 v[174:175], v[204:205], v[170:171]
	v_fma_f64 v[174:175], v[202:203], v[168:169], v[174:175]
	v_mul_f64 v[168:169], v[204:205], v[168:169]
	v_fma_f64 v[168:169], v[202:203], v[170:171], -v[168:169]
	s_clause 0x3
	buffer_load_dword v202, off, s[24:27], 0 offset:564
	buffer_load_dword v203, off, s[24:27], 0 offset:568
	buffer_load_dword v204, off, s[24:27], 0 offset:572
	buffer_load_dword v205, off, s[24:27], 0 offset:576
	s_waitcnt vmcnt(0) lgkmcnt(13)
	v_mul_f64 v[170:171], v[204:205], v[166:167]
	v_fma_f64 v[170:171], v[202:203], v[164:165], v[170:171]
	v_mul_f64 v[164:165], v[204:205], v[164:165]
	v_fma_f64 v[164:165], v[202:203], v[166:167], -v[164:165]
	s_clause 0x3
	buffer_load_dword v202, off, s[24:27], 0 offset:596
	buffer_load_dword v203, off, s[24:27], 0 offset:600
	buffer_load_dword v204, off, s[24:27], 0 offset:604
	buffer_load_dword v205, off, s[24:27], 0 offset:608
	;; [unrolled: 10-line block ×3, first 2 shown]
	s_waitcnt vmcnt(0) lgkmcnt(11)
	v_mul_f64 v[162:163], v[204:205], v[158:159]
	v_fma_f64 v[162:163], v[202:203], v[156:157], v[162:163]
	v_mul_f64 v[156:157], v[204:205], v[156:157]
	v_add_f64 v[162:163], v[0:1], -v[162:163]
	v_fma_f64 v[156:157], v[202:203], v[158:159], -v[156:157]
	s_clause 0x3
	buffer_load_dword v202, off, s[24:27], 0 offset:692
	buffer_load_dword v203, off, s[24:27], 0 offset:696
	buffer_load_dword v204, off, s[24:27], 0 offset:700
	buffer_load_dword v205, off, s[24:27], 0 offset:704
	v_add_f64 v[156:157], v[2:3], -v[156:157]
	s_waitcnt vmcnt(0) lgkmcnt(10)
	v_mul_f64 v[158:159], v[204:205], v[154:155]
	v_fma_f64 v[158:159], v[202:203], v[152:153], v[158:159]
	v_mul_f64 v[152:153], v[204:205], v[152:153]
	v_add_f64 v[158:159], v[174:175], -v[158:159]
	v_fma_f64 v[152:153], v[202:203], v[154:155], -v[152:153]
	s_clause 0x3
	buffer_load_dword v202, off, s[24:27], 0 offset:724
	buffer_load_dword v203, off, s[24:27], 0 offset:728
	;; [unrolled: 1-line block ×4, first 2 shown]
	v_add_f64 v[152:153], v[168:169], -v[152:153]
	v_fma_f64 v[168:169], v[168:169], 2.0, -v[152:153]
	s_waitcnt vmcnt(0) lgkmcnt(9)
	v_mul_f64 v[154:155], v[204:205], v[150:151]
	v_fma_f64 v[154:155], v[202:203], v[148:149], v[154:155]
	v_mul_f64 v[148:149], v[204:205], v[148:149]
	v_add_f64 v[154:155], v[170:171], -v[154:155]
	v_fma_f64 v[148:149], v[202:203], v[150:151], -v[148:149]
	s_clause 0x3
	buffer_load_dword v202, off, s[24:27], 0 offset:740
	buffer_load_dword v203, off, s[24:27], 0 offset:744
	;; [unrolled: 1-line block ×4, first 2 shown]
	v_add_f64 v[148:149], v[164:165], -v[148:149]
	s_waitcnt vmcnt(0) lgkmcnt(8)
	v_mul_f64 v[150:151], v[204:205], v[142:143]
	v_fma_f64 v[150:151], v[202:203], v[140:141], v[150:151]
	v_mul_f64 v[140:141], v[204:205], v[140:141]
	v_add_f64 v[150:151], v[166:167], -v[150:151]
	v_fma_f64 v[140:141], v[202:203], v[142:143], -v[140:141]
	s_clause 0x3
	buffer_load_dword v202, off, s[24:27], 0 offset:804
	buffer_load_dword v203, off, s[24:27], 0 offset:808
	;; [unrolled: 1-line block ×4, first 2 shown]
	v_fma_f64 v[166:167], v[166:167], 2.0, -v[150:151]
	v_add_f64 v[150:151], v[152:153], -v[150:151]
	v_fma_f64 v[152:153], v[152:153], 2.0, -v[150:151]
	s_waitcnt vmcnt(0) lgkmcnt(6)
	v_mul_f64 v[142:143], v[204:205], v[146:147]
	v_fma_f64 v[142:143], v[202:203], v[144:145], v[142:143]
	v_mul_f64 v[144:145], v[204:205], v[144:145]
	v_fma_f64 v[144:145], v[202:203], v[146:147], -v[144:145]
	s_clause 0x3
	buffer_load_dword v202, off, s[24:27], 0 offset:788
	buffer_load_dword v203, off, s[24:27], 0 offset:792
	buffer_load_dword v204, off, s[24:27], 0 offset:796
	buffer_load_dword v205, off, s[24:27], 0 offset:800
	s_waitcnt vmcnt(0) lgkmcnt(5)
	v_mul_f64 v[146:147], v[204:205], v[138:139]
	v_fma_f64 v[146:147], v[202:203], v[136:137], v[146:147]
	v_mul_f64 v[136:137], v[204:205], v[136:137]
	v_fma_f64 v[136:137], v[202:203], v[138:139], -v[136:137]
	s_clause 0x3
	buffer_load_dword v202, off, s[24:27], 0 offset:820
	buffer_load_dword v203, off, s[24:27], 0 offset:824
	buffer_load_dword v204, off, s[24:27], 0 offset:828
	buffer_load_dword v205, off, s[24:27], 0 offset:832
	;; [unrolled: 10-line block ×3, first 2 shown]
	buffer_load_dword v206, off, s[24:27], 0 offset:708
	buffer_load_dword v207, off, s[24:27], 0 offset:712
	buffer_load_dword v208, off, s[24:27], 0 offset:716
	buffer_load_dword v209, off, s[24:27], 0 offset:720
	s_waitcnt vmcnt(4) lgkmcnt(3)
	v_mul_f64 v[134:135], v[204:205], v[130:131]
	v_fma_f64 v[134:135], v[202:203], v[128:129], v[134:135]
	v_mul_f64 v[128:129], v[204:205], v[128:129]
	v_fma_f64 v[128:129], v[202:203], v[130:131], -v[128:129]
	v_add_f64 v[130:131], v[112:113], -v[200:201]
	s_waitcnt vmcnt(0) lgkmcnt(1)
	v_mul_f64 v[200:201], v[208:209], v[126:127]
	v_mul_f64 v[202:203], v[208:209], v[124:125]
	s_clause 0x7
	buffer_load_dword v208, off, s[24:27], 0 offset:644
	buffer_load_dword v209, off, s[24:27], 0 offset:648
	;; [unrolled: 1-line block ×8, first 2 shown]
	s_waitcnt vmcnt(0) lgkmcnt(0)
	s_waitcnt_vscnt null, 0x0
	s_barrier
	buffer_gl0_inv
	v_add_f64 v[128:129], v[110:111], -v[128:129]
	v_fma_f64 v[112:113], v[112:113], 2.0, -v[130:131]
	v_fma_f64 v[124:125], v[206:207], v[124:125], v[200:201]
	v_fma_f64 v[126:127], v[206:207], v[126:127], -v[202:203]
	v_add_f64 v[188:189], v[130:131], v[188:189]
	v_fma_f64 v[110:111], v[110:111], 2.0, -v[128:129]
	v_add_f64 v[196:197], v[112:113], -v[196:197]
	v_add_f64 v[124:125], v[146:147], -v[124:125]
	;; [unrolled: 1-line block ×3, first 2 shown]
	v_fma_f64 v[136:137], v[136:137], 2.0, -v[126:127]
	v_mul_f64 v[204:205], v[210:211], v[118:119]
	v_mul_f64 v[200:201], v[210:211], v[116:117]
	;; [unrolled: 1-line block ×4, first 2 shown]
	v_add_f64 v[210:211], v[128:129], -v[124:125]
	v_add_f64 v[216:217], v[110:111], -v[136:137]
	v_fma_f64 v[116:117], v[208:209], v[116:117], v[204:205]
	v_fma_f64 v[118:119], v[208:209], v[118:119], -v[200:201]
	v_fma_f64 v[120:121], v[214:215], v[120:121], v[202:203]
	v_fma_f64 v[122:123], v[214:215], v[122:123], -v[206:207]
	v_fma_f64 v[200:201], v[112:113], 2.0, -v[196:197]
	v_add_f64 v[112:113], v[160:161], -v[140:141]
	v_fma_f64 v[140:141], v[114:115], 2.0, -v[198:199]
	v_add_f64 v[114:115], v[108:109], -v[134:135]
	v_add_f64 v[134:135], v[182:183], v[172:173]
	v_add_f64 v[172:173], v[176:177], -v[178:179]
	v_fma_f64 v[178:179], v[0:1], 2.0, -v[162:163]
	v_fma_f64 v[202:203], v[2:3], 2.0, -v[156:157]
	;; [unrolled: 1-line block ×5, first 2 shown]
	v_add_f64 v[204:205], v[162:163], v[148:149]
	v_add_f64 v[206:207], v[156:157], -v[154:155]
	v_fma_f64 v[174:175], v[130:131], 2.0, -v[188:189]
	v_fma_f64 v[224:225], v[110:111], 2.0, -v[216:217]
	;; [unrolled: 1-line block ×3, first 2 shown]
	v_add_f64 v[116:117], v[142:143], -v[116:117]
	v_add_f64 v[118:119], v[144:145], -v[118:119]
	;; [unrolled: 1-line block ×4, first 2 shown]
	v_fma_f64 v[160:161], v[160:161], 2.0, -v[112:113]
	v_add_f64 v[148:149], v[158:159], v[112:113]
	v_fma_f64 v[112:113], v[146:147], 2.0, -v[124:125]
	v_add_f64 v[208:209], v[114:115], v[126:127]
	v_fma_f64 v[130:131], v[176:177], 2.0, -v[172:173]
	v_fma_f64 v[108:109], v[108:109], 2.0, -v[114:115]
	v_add_f64 v[176:177], v[178:179], -v[0:1]
	v_fma_f64 v[142:143], v[142:143], 2.0, -v[116:117]
	v_fma_f64 v[144:145], v[144:145], 2.0, -v[118:119]
	;; [unrolled: 1-line block ×4, first 2 shown]
	v_add_f64 v[154:155], v[116:117], v[122:123]
	v_fma_f64 v[122:123], v[190:191], 2.0, -v[186:187]
	v_add_f64 v[170:171], v[118:119], -v[120:121]
	v_fma_f64 v[120:121], v[182:183], 2.0, -v[134:135]
	v_fma_f64 v[182:183], v[192:193], 2.0, -v[194:195]
	;; [unrolled: 1-line block ×3, first 2 shown]
	v_add_f64 v[214:215], v[108:109], -v[112:113]
	v_fma_f64 v[132:133], v[184:185], 2.0, -v[180:181]
	v_fma_f64 v[192:193], v[156:157], 2.0, -v[206:207]
	;; [unrolled: 1-line block ×3, first 2 shown]
	v_add_f64 v[138:139], v[164:165], -v[166:167]
	v_add_f64 v[146:147], v[168:169], -v[160:161]
	v_fma_f64 v[156:157], v[158:159], 2.0, -v[148:149]
	v_add_f64 v[184:185], v[202:203], -v[2:3]
	v_fma_f64 v[136:137], v[148:149], s[4:5], v[204:205]
	v_fma_f64 v[178:179], v[178:179], 2.0, -v[176:177]
	v_add_f64 v[158:159], v[142:143], -v[124:125]
	v_add_f64 v[160:161], v[144:145], -v[126:127]
	v_fma_f64 v[162:163], v[116:117], 2.0, -v[154:155]
	v_add_f64 v[0:1], v[200:201], -v[122:123]
	v_fma_f64 v[166:167], v[118:119], 2.0, -v[170:171]
	v_fma_f64 v[112:113], v[120:121], s[0:1], v[174:175]
	v_fma_f64 v[114:115], v[130:131], s[0:1], v[182:183]
	;; [unrolled: 1-line block ×4, first 2 shown]
	v_add_f64 v[2:3], v[140:141], -v[132:133]
	v_fma_f64 v[132:133], v[152:153], s[0:1], v[192:193]
	v_fma_f64 v[222:223], v[108:109], 2.0, -v[214:215]
	v_fma_f64 v[124:125], v[164:165], 2.0, -v[138:139]
	v_fma_f64 v[164:165], v[150:151], s[4:5], v[206:207]
	v_fma_f64 v[126:127], v[168:169], 2.0, -v[146:147]
	v_fma_f64 v[128:129], v[156:157], s[0:1], v[190:191]
	v_fma_f64 v[136:137], v[150:151], s[4:5], v[136:137]
	v_fma_f64 v[202:203], v[202:203], 2.0, -v[184:185]
	v_fma_f64 v[228:229], v[154:155], s[4:5], v[208:209]
	v_fma_f64 v[142:143], v[142:143], 2.0, -v[158:159]
	v_fma_f64 v[144:145], v[144:145], 2.0, -v[160:161]
	v_fma_f64 v[168:169], v[162:163], s[0:1], v[218:219]
	v_add_f64 v[150:151], v[216:217], -v[158:159]
	v_fma_f64 v[226:227], v[166:167], s[0:1], v[220:221]
	v_fma_f64 v[108:109], v[130:131], s[4:5], v[112:113]
	;; [unrolled: 1-line block ×3, first 2 shown]
	v_fma_f64 v[120:121], v[200:201], 2.0, -v[0:1]
	buffer_load_dword v200, off, s[24:27], 0 offset:868 ; 4-byte Folded Reload
	v_fma_f64 v[112:113], v[172:173], s[4:5], v[116:117]
	v_fma_f64 v[114:115], v[134:135], s[0:1], v[118:119]
	v_add_f64 v[116:117], v[196:197], v[180:181]
	v_add_f64 v[118:119], v[198:199], -v[186:187]
	v_fma_f64 v[122:123], v[140:141], 2.0, -v[2:3]
	v_fma_f64 v[130:131], v[156:157], s[0:1], v[132:133]
	v_add_f64 v[132:133], v[176:177], v[146:147]
	v_add_f64 v[134:135], v[184:185], -v[138:139]
	v_fma_f64 v[138:139], v[148:149], s[0:1], v[164:165]
	v_add_f64 v[148:149], v[214:215], v[160:161]
	v_add_f64 v[124:125], v[178:179], -v[124:125]
	v_add_f64 v[126:127], v[202:203], -v[126:127]
	v_fma_f64 v[172:173], v[170:171], s[4:5], v[210:211]
	v_add_f64 v[140:141], v[222:223], -v[142:143]
	v_add_f64 v[142:143], v[224:225], -v[144:145]
	v_fma_f64 v[144:145], v[166:167], s[4:5], v[168:169]
	v_fma_f64 v[128:129], v[152:153], s[4:5], v[128:129]
	;; [unrolled: 1-line block ×3, first 2 shown]
	v_fma_f64 v[156:157], v[174:175], 2.0, -v[108:109]
	v_fma_f64 v[158:159], v[182:183], 2.0, -v[110:111]
	v_fma_f64 v[152:153], v[170:171], s[4:5], v[228:229]
	v_fma_f64 v[180:181], v[204:205], 2.0, -v[136:137]
	v_fma_f64 v[164:165], v[188:189], 2.0, -v[112:113]
	;; [unrolled: 1-line block ×8, first 2 shown]
	s_waitcnt vmcnt(0)
	ds_write_b128 v200, v[120:123]
	ds_write_b128 v200, v[156:159] offset:160
	ds_write_b128 v200, v[160:163] offset:320
	;; [unrolled: 1-line block ×7, first 2 shown]
	buffer_load_dword v0, off, s[24:27], 0 offset:872 ; 4-byte Folded Reload
	v_fma_f64 v[168:169], v[178:179], 2.0, -v[124:125]
	v_fma_f64 v[170:171], v[202:203], 2.0, -v[126:127]
	v_fma_f64 v[154:155], v[154:155], s[0:1], v[172:173]
	v_fma_f64 v[172:173], v[190:191], 2.0, -v[128:129]
	v_fma_f64 v[178:179], v[184:185], 2.0, -v[134:135]
	;; [unrolled: 1-line block ×9, first 2 shown]
	s_waitcnt vmcnt(0)
	ds_write_b128 v0, v[168:171]
	ds_write_b128 v0, v[172:175] offset:160
	ds_write_b128 v0, v[176:179] offset:320
	;; [unrolled: 1-line block ×7, first 2 shown]
	buffer_load_dword v0, off, s[24:27], 0 offset:876 ; 4-byte Folded Reload
	v_fma_f64 v[198:199], v[210:211], 2.0, -v[154:155]
	s_waitcnt vmcnt(0)
	ds_write_b128 v0, v[184:187]
	ds_write_b128 v0, v[188:191] offset:160
	ds_write_b128 v0, v[192:195] offset:320
	;; [unrolled: 1-line block ×7, first 2 shown]
	s_and_saveexec_b32 s6, vcc_lo
	s_cbranch_execz .LBB0_9
; %bb.8:
	s_clause 0x23
	buffer_load_dword v144, off, s[24:27], 0 offset:1016
	buffer_load_dword v145, off, s[24:27], 0 offset:1020
	buffer_load_dword v146, off, s[24:27], 0 offset:1024
	buffer_load_dword v147, off, s[24:27], 0 offset:1028
	buffer_load_dword v136, off, s[24:27], 0 offset:984
	buffer_load_dword v137, off, s[24:27], 0 offset:988
	buffer_load_dword v138, off, s[24:27], 0 offset:992
	buffer_load_dword v139, off, s[24:27], 0 offset:996
	buffer_load_dword v152, off, s[24:27], 0 offset:1048
	buffer_load_dword v153, off, s[24:27], 0 offset:1052
	buffer_load_dword v154, off, s[24:27], 0 offset:1056
	buffer_load_dword v155, off, s[24:27], 0 offset:1060
	buffer_load_dword v164, off, s[24:27], 0 offset:20
	buffer_load_dword v165, off, s[24:27], 0 offset:24
	buffer_load_dword v166, off, s[24:27], 0 offset:28
	buffer_load_dword v167, off, s[24:27], 0 offset:32
	buffer_load_dword v132, off, s[24:27], 0 offset:968
	buffer_load_dword v133, off, s[24:27], 0 offset:972
	buffer_load_dword v134, off, s[24:27], 0 offset:976
	buffer_load_dword v135, off, s[24:27], 0 offset:980
	buffer_load_dword v148, off, s[24:27], 0 offset:1032
	buffer_load_dword v149, off, s[24:27], 0 offset:1036
	buffer_load_dword v150, off, s[24:27], 0 offset:1040
	buffer_load_dword v151, off, s[24:27], 0 offset:1044
	buffer_load_dword v140, off, s[24:27], 0 offset:1000
	buffer_load_dword v141, off, s[24:27], 0 offset:1004
	buffer_load_dword v142, off, s[24:27], 0 offset:1008
	buffer_load_dword v143, off, s[24:27], 0 offset:1012
	buffer_load_dword v156, off, s[24:27], 0 offset:1064
	buffer_load_dword v157, off, s[24:27], 0 offset:1068
	buffer_load_dword v158, off, s[24:27], 0 offset:1072
	buffer_load_dword v159, off, s[24:27], 0 offset:1076
	buffer_load_dword v160, off, s[24:27], 0 offset:4
	buffer_load_dword v161, off, s[24:27], 0 offset:8
	buffer_load_dword v162, off, s[24:27], 0 offset:12
	buffer_load_dword v163, off, s[24:27], 0 offset:16
	s_waitcnt vmcnt(32)
	v_mul_f64 v[0:1], v[146:147], v[100:101]
	s_waitcnt vmcnt(28)
	v_mul_f64 v[2:3], v[138:139], v[94:95]
	;; [unrolled: 2-line block ×7, first 2 shown]
	v_mul_f64 v[118:119], v[134:135], v[90:91]
	v_mul_f64 v[124:125], v[150:151], v[106:107]
	;; [unrolled: 1-line block ×7, first 2 shown]
	v_fma_f64 v[0:1], v[144:145], v[102:103], -v[0:1]
	v_fma_f64 v[2:3], v[136:137], v[92:93], v[2:3]
	v_fma_f64 v[92:93], v[152:153], v[164:165], v[108:109]
	v_fma_f64 v[90:91], v[132:133], v[90:91], -v[110:111]
	v_fma_f64 v[102:103], v[148:149], v[106:107], -v[112:113]
	v_fma_f64 v[96:97], v[140:141], v[96:97], v[114:115]
	v_fma_f64 v[106:107], v[156:157], v[160:161], v[116:117]
	;; [unrolled: 1-line block ×5, first 2 shown]
	v_fma_f64 v[94:95], v[136:137], v[94:95], -v[120:121]
	v_fma_f64 v[108:109], v[152:153], v[166:167], -v[122:123]
	;; [unrolled: 1-line block ×4, first 2 shown]
	v_add_f64 v[0:1], v[86:87], -v[0:1]
	v_add_f64 v[92:93], v[2:3], -v[92:93]
	;; [unrolled: 1-line block ×8, first 2 shown]
	v_fma_f64 v[86:87], v[86:87], 2.0, -v[0:1]
	v_add_f64 v[112:113], v[0:1], -v[92:93]
	v_fma_f64 v[2:3], v[2:3], 2.0, -v[92:93]
	v_fma_f64 v[90:91], v[90:91], 2.0, -v[102:103]
	v_add_f64 v[114:115], v[102:103], -v[106:107]
	v_fma_f64 v[96:97], v[96:97], 2.0, -v[106:107]
	v_fma_f64 v[88:89], v[88:89], 2.0, -v[104:105]
	;; [unrolled: 1-line block ×4, first 2 shown]
	v_add_f64 v[106:107], v[108:109], v[100:101]
	v_fma_f64 v[98:99], v[98:99], 2.0, -v[110:111]
	v_add_f64 v[92:93], v[110:111], v[104:105]
	v_fma_f64 v[110:111], v[0:1], 2.0, -v[112:113]
	v_fma_f64 v[102:103], v[102:103], 2.0, -v[114:115]
	v_add_f64 v[0:1], v[88:89], -v[96:97]
	v_add_f64 v[96:97], v[84:85], -v[2:3]
	v_fma_f64 v[2:3], v[114:115], s[4:5], v[112:113]
	v_add_f64 v[108:109], v[86:87], -v[94:95]
	v_add_f64 v[94:95], v[90:91], -v[98:99]
	v_fma_f64 v[98:99], v[104:105], 2.0, -v[92:93]
	v_fma_f64 v[104:105], v[100:101], 2.0, -v[106:107]
	v_fma_f64 v[100:101], v[92:93], s[4:5], v[106:107]
	v_fma_f64 v[116:117], v[102:103], s[0:1], v[110:111]
	v_fma_f64 v[88:89], v[88:89], 2.0, -v[0:1]
	v_fma_f64 v[122:123], v[84:85], 2.0, -v[96:97]
	v_fma_f64 v[2:3], v[92:93], s[0:1], v[2:3]
	v_fma_f64 v[118:119], v[86:87], 2.0, -v[108:109]
	v_add_f64 v[86:87], v[108:109], -v[0:1]
	v_fma_f64 v[120:121], v[90:91], 2.0, -v[94:95]
	v_add_f64 v[84:85], v[96:97], v[94:95]
	v_fma_f64 v[124:125], v[98:99], s[0:1], v[104:105]
	v_fma_f64 v[0:1], v[114:115], s[4:5], v[100:101]
	v_mov_b32_e32 v114, 0x50
	v_fma_f64 v[90:91], v[98:99], s[0:1], v[116:117]
	v_add_f64 v[92:93], v[122:123], -v[88:89]
	v_fma_f64 v[98:99], v[112:113], 2.0, -v[2:3]
	s_clause 0x1
	buffer_load_dword v112, off, s[24:27], 0 offset:524
	buffer_load_dword v113, off, s[24:27], 0 offset:528
	v_add_f64 v[94:95], v[118:119], -v[120:121]
	v_fma_f64 v[100:101], v[96:97], 2.0, -v[84:85]
	v_fma_f64 v[88:89], v[102:103], s[4:5], v[124:125]
	v_fma_f64 v[102:103], v[108:109], 2.0, -v[86:87]
	v_fma_f64 v[96:97], v[106:107], 2.0, -v[0:1]
	;; [unrolled: 1-line block ×6, first 2 shown]
	s_waitcnt vmcnt(1)
	v_mul_u32_u24_sdwa v112, v112, v114 dst_sel:DWORD dst_unused:UNUSED_PAD src0_sel:WORD_0 src1_sel:DWORD
	s_waitcnt vmcnt(0)
	v_or_b32_e32 v112, v112, v113
	buffer_load_dword v113, off, s[24:27], 0 ; 4-byte Folded Reload
	s_waitcnt vmcnt(0)
	v_add_lshl_u32 v112, v113, v112, 4
	ds_write_b128 v112, v[84:87] offset:960
	ds_write_b128 v112, v[100:103] offset:320
	;; [unrolled: 1-line block ×5, first 2 shown]
	ds_write_b128 v112, v[108:111]
	ds_write_b128 v112, v[104:107] offset:160
	ds_write_b128 v112, v[0:3] offset:1120
.LBB0_9:
	s_or_b32 exec_lo, exec_lo, s6
	s_waitcnt lgkmcnt(0)
	s_barrier
	buffer_gl0_inv
	ds_read_b128 v[84:87], v213 offset:1280
	ds_read_b128 v[0:3], v213 offset:1024
	;; [unrolled: 1-line block ×4, first 2 shown]
	s_mov_b32 s4, 0xe8584caa
	s_mov_b32 s5, 0xbfebb67a
	;; [unrolled: 1-line block ×4, first 2 shown]
	s_waitcnt lgkmcnt(3)
	v_mul_f64 v[96:97], v[250:251], v[86:87]
	v_mul_f64 v[98:99], v[250:251], v[84:85]
	s_waitcnt lgkmcnt(1)
	v_mul_f64 v[100:101], v[242:243], v[90:91]
	v_mul_f64 v[102:103], v[242:243], v[88:89]
	v_fma_f64 v[108:109], v[248:249], v[84:85], v[96:97]
	v_fma_f64 v[110:111], v[248:249], v[86:87], -v[98:99]
	ds_read_b128 v[84:87], v213 offset:3840
	ds_read_b128 v[96:99], v213 offset:3584
	v_fma_f64 v[112:113], v[240:241], v[88:89], v[100:101]
	v_fma_f64 v[114:115], v[240:241], v[90:91], -v[102:103]
	ds_read_b128 v[88:91], v213 offset:5120
	s_waitcnt lgkmcnt(2)
	v_mul_f64 v[104:105], v[238:239], v[86:87]
	v_mul_f64 v[100:101], v[238:239], v[84:85]
	v_fma_f64 v[116:117], v[236:237], v[84:85], v[104:105]
	v_fma_f64 v[118:119], v[236:237], v[86:87], -v[100:101]
	ds_read_b128 v[84:87], v213 offset:5376
	s_waitcnt lgkmcnt(1)
	v_mul_f64 v[100:101], v[234:235], v[90:91]
	v_mul_f64 v[102:103], v[234:235], v[88:89]
	v_fma_f64 v[120:121], v[232:233], v[88:89], v[100:101]
	v_fma_f64 v[122:123], v[232:233], v[90:91], -v[102:103]
	ds_read_b128 v[88:91], v213 offset:6400
	ds_read_b128 v[100:103], v213 offset:6144
	s_waitcnt lgkmcnt(1)
	v_mul_f64 v[104:105], v[246:247], v[90:91]
	v_fma_f64 v[124:125], v[244:245], v[88:89], v[104:105]
	v_mul_f64 v[88:89], v[246:247], v[88:89]
	v_fma_f64 v[126:127], v[244:245], v[90:91], -v[88:89]
	ds_read_b128 v[88:91], v213 offset:1536
	ds_read_b128 v[104:107], v213 offset:1792
	s_waitcnt lgkmcnt(1)
	v_mul_f64 v[128:129], v[18:19], v[90:91]
	v_mul_f64 v[18:19], v[18:19], v[88:89]
	v_fma_f64 v[128:129], v[16:17], v[88:89], v[128:129]
	v_fma_f64 v[88:89], v[16:17], v[90:91], -v[18:19]
	v_mul_f64 v[16:17], v[14:15], v[94:95]
	v_mul_f64 v[14:15], v[14:15], v[92:93]
	v_fma_f64 v[90:91], v[12:13], v[92:93], v[16:17]
	v_fma_f64 v[92:93], v[12:13], v[94:95], -v[14:15]
	ds_read_b128 v[12:15], v213 offset:4096
	ds_read_b128 v[16:19], v213 offset:4352
	s_waitcnt lgkmcnt(1)
	v_mul_f64 v[94:95], v[10:11], v[14:15]
	v_mul_f64 v[10:11], v[10:11], v[12:13]
	v_fma_f64 v[94:95], v[8:9], v[12:13], v[94:95]
	v_fma_f64 v[130:131], v[8:9], v[14:15], -v[10:11]
	v_mul_f64 v[8:9], v[6:7], v[86:87]
	v_mul_f64 v[6:7], v[6:7], v[84:85]
	v_fma_f64 v[132:133], v[4:5], v[84:85], v[8:9]
	v_fma_f64 v[84:85], v[4:5], v[86:87], -v[6:7]
	ds_read_b128 v[4:7], v213 offset:6656
	ds_read_b128 v[8:11], v213 offset:6912
	s_waitcnt lgkmcnt(1)
	v_mul_f64 v[12:13], v[22:23], v[6:7]
	v_fma_f64 v[86:87], v[20:21], v[4:5], v[12:13]
	v_mul_f64 v[4:5], v[22:23], v[4:5]
	v_fma_f64 v[134:135], v[20:21], v[6:7], -v[4:5]
	v_mul_f64 v[4:5], v[38:39], v[106:107]
	v_fma_f64 v[136:137], v[36:37], v[104:105], v[4:5]
	v_mul_f64 v[4:5], v[38:39], v[104:105]
	v_fma_f64 v[36:37], v[36:37], v[106:107], -v[4:5]
	ds_read_b128 v[4:7], v213 offset:3072
	ds_read_b128 v[12:15], v213 offset:3328
	s_waitcnt lgkmcnt(1)
	v_mul_f64 v[20:21], v[34:35], v[6:7]
	v_fma_f64 v[38:39], v[32:33], v[4:5], v[20:21]
	v_mul_f64 v[4:5], v[34:35], v[4:5]
	v_fma_f64 v[104:105], v[32:33], v[6:7], -v[4:5]
	v_mul_f64 v[4:5], v[30:31], v[18:19]
	v_add_f64 v[32:33], v[110:111], v[118:119]
	v_fma_f64 v[106:107], v[28:29], v[16:17], v[4:5]
	v_mul_f64 v[4:5], v[30:31], v[16:17]
	v_add_f64 v[32:33], v[32:33], v[126:127]
	v_fma_f64 v[138:139], v[28:29], v[18:19], -v[4:5]
	ds_read_b128 v[4:7], v213 offset:5632
	ds_read_b128 v[16:19], v213 offset:5888
	v_add_f64 v[28:29], v[108:109], v[116:117]
	s_waitcnt lgkmcnt(1)
	v_mul_f64 v[20:21], v[26:27], v[6:7]
	v_add_f64 v[28:29], v[28:29], v[124:125]
	v_fma_f64 v[140:141], v[24:25], v[4:5], v[20:21]
	v_mul_f64 v[4:5], v[26:27], v[4:5]
	v_add_f64 v[26:27], v[114:115], -v[122:123]
	v_fma_f64 v[142:143], v[24:25], v[6:7], -v[4:5]
	v_mul_f64 v[4:5], v[42:43], v[10:11]
	v_add_f64 v[24:25], v[116:117], -v[124:125]
	v_fma_f64 v[144:145], v[40:41], v[8:9], v[4:5]
	v_mul_f64 v[4:5], v[42:43], v[8:9]
	v_fma_f64 v[40:41], v[40:41], v[10:11], -v[4:5]
	ds_read_b128 v[4:7], v213 offset:2048
	ds_read_b128 v[8:11], v213 offset:2304
	s_waitcnt lgkmcnt(1)
	v_mul_f64 v[20:21], v[62:63], v[6:7]
	v_fma_f64 v[146:147], v[60:61], v[4:5], v[20:21]
	v_mul_f64 v[4:5], v[62:63], v[4:5]
	v_fma_f64 v[148:149], v[60:61], v[6:7], -v[4:5]
	v_mul_f64 v[4:5], v[54:55], v[14:15]
	v_add_f64 v[60:61], v[92:93], v[84:85]
	v_fma_f64 v[150:151], v[52:53], v[12:13], v[4:5]
	v_mul_f64 v[4:5], v[54:55], v[12:13]
	v_add_f64 v[54:55], v[90:91], v[132:133]
	v_fma_f64 v[152:153], v[52:53], v[14:15], -v[4:5]
	ds_read_b128 v[4:7], v213 offset:4608
	ds_read_b128 v[12:15], v213 offset:4864
	s_waitcnt lgkmcnt(1)
	v_mul_f64 v[20:21], v[50:51], v[6:7]
	v_fma_f64 v[154:155], v[48:49], v[4:5], v[20:21]
	v_mul_f64 v[4:5], v[50:51], v[4:5]
	v_add_f64 v[50:51], v[130:131], v[134:135]
	v_fma_f64 v[156:157], v[48:49], v[6:7], -v[4:5]
	v_mul_f64 v[4:5], v[46:47], v[18:19]
	v_fma_f64 v[50:51], v[50:51], -0.5, v[88:89]
	v_fma_f64 v[158:159], v[44:45], v[16:17], v[4:5]
	v_mul_f64 v[4:5], v[46:47], v[16:17]
	v_fma_f64 v[160:161], v[44:45], v[18:19], -v[4:5]
	ds_read_b128 v[4:7], v213 offset:7168
	ds_read_b128 v[16:19], v213 offset:7424
	s_waitcnt lgkmcnt(1)
	v_mul_f64 v[20:21], v[66:67], v[6:7]
	s_waitcnt lgkmcnt(0)
	v_mul_f64 v[48:49], v[58:59], v[16:17]
	v_fma_f64 v[162:163], v[64:65], v[4:5], v[20:21]
	v_mul_f64 v[4:5], v[66:67], v[4:5]
	v_add_f64 v[20:21], v[118:119], v[126:127]
	v_fma_f64 v[164:165], v[64:65], v[6:7], -v[4:5]
	v_mul_f64 v[4:5], v[82:83], v[10:11]
	v_mul_f64 v[6:7], v[78:79], v[96:97]
	v_fma_f64 v[20:21], v[20:21], -0.5, v[110:111]
	v_fma_f64 v[110:111], v[56:57], v[18:19], -v[48:49]
	v_add_f64 v[48:49], v[94:95], v[86:87]
	v_fma_f64 v[166:167], v[80:81], v[8:9], v[4:5]
	v_mul_f64 v[4:5], v[82:83], v[8:9]
	v_mul_f64 v[8:9], v[70:71], v[102:103]
	v_fma_f64 v[30:31], v[24:25], s[0:1], v[20:21]
	v_fma_f64 v[20:21], v[24:25], s[4:5], v[20:21]
	v_add_f64 v[24:25], v[118:119], -v[126:127]
	v_fma_f64 v[48:49], v[48:49], -0.5, v[128:129]
	v_fma_f64 v[80:81], v[80:81], v[10:11], -v[4:5]
	v_mul_f64 v[4:5], v[78:79], v[98:99]
	v_mul_f64 v[10:11], v[70:71], v[100:101]
	v_fma_f64 v[100:101], v[68:69], v[100:101], v[8:9]
	v_mul_f64 v[44:45], v[30:31], s[4:5]
	v_mul_f64 v[30:31], v[30:31], 0.5
	v_add_f64 v[70:71], v[104:105], v[142:143]
	v_add_f64 v[78:79], v[136:137], v[106:107]
	v_fma_f64 v[82:83], v[76:77], v[96:97], v[4:5]
	v_fma_f64 v[96:97], v[76:77], v[98:99], -v[6:7]
	v_mul_f64 v[4:5], v[74:75], v[14:15]
	v_mul_f64 v[6:7], v[74:75], v[12:13]
	v_fma_f64 v[102:103], v[68:69], v[102:103], -v[10:11]
	ds_read_b128 v[8:11], v213 offset:256
	v_add_f64 v[78:79], v[78:79], v[144:145]
	v_fma_f64 v[98:99], v[72:73], v[12:13], v[4:5]
	v_fma_f64 v[168:169], v[72:73], v[14:15], -v[6:7]
	v_add_f64 v[12:13], v[112:113], v[120:121]
	v_add_f64 v[14:15], v[114:115], v[122:123]
	ds_read_b128 v[4:7], v231
	s_waitcnt lgkmcnt(0)
	v_add_f64 v[22:23], v[4:5], v[112:113]
	v_fma_f64 v[4:5], v[12:13], -0.5, v[4:5]
	v_add_f64 v[12:13], v[6:7], v[114:115]
	v_fma_f64 v[6:7], v[14:15], -0.5, v[6:7]
	v_add_f64 v[14:15], v[116:117], v[124:125]
	v_add_f64 v[114:115], v[148:149], v[156:157]
	;; [unrolled: 1-line block ×3, first 2 shown]
	v_fma_f64 v[34:35], v[26:27], s[4:5], v[4:5]
	v_fma_f64 v[26:27], v[26:27], s[0:1], v[4:5]
	v_add_f64 v[4:5], v[112:113], -v[120:121]
	v_fma_f64 v[14:15], v[14:15], -0.5, v[108:109]
	v_add_f64 v[46:47], v[12:13], v[122:123]
	v_mul_f64 v[12:13], v[58:59], v[18:19]
	v_add_f64 v[120:121], v[96:97], v[102:103]
	v_fma_f64 v[52:53], v[4:5], s[4:5], v[6:7]
	v_fma_f64 v[42:43], v[24:25], s[4:5], v[14:15]
	;; [unrolled: 1-line block ×3, first 2 shown]
	v_mul_f64 v[24:25], v[20:21], s[4:5]
	v_mul_f64 v[20:21], v[20:21], -0.5
	v_fma_f64 v[108:109], v[56:57], v[16:17], v[12:13]
	v_add_f64 v[56:57], v[94:95], -v[86:87]
	v_add_f64 v[12:13], v[22:23], -v[28:29]
	v_fma_f64 v[44:45], v[42:43], 0.5, v[44:45]
	v_fma_f64 v[30:31], v[42:43], s[0:1], v[30:31]
	v_fma_f64 v[42:43], v[4:5], s[0:1], v[6:7]
	v_fma_f64 v[24:25], v[14:15], -0.5, v[24:25]
	v_fma_f64 v[58:59], v[14:15], s[0:1], v[20:21]
	v_add_f64 v[4:5], v[22:23], v[28:29]
	v_add_f64 v[6:7], v[46:47], v[32:33]
	v_add_f64 v[14:15], v[46:47], -v[32:33]
	v_add_f64 v[28:29], v[8:9], v[90:91]
	v_add_f64 v[32:33], v[92:93], -v[84:85]
	v_add_f64 v[46:47], v[128:129], v[94:95]
	v_add_f64 v[16:17], v[34:35], v[44:45]
	v_add_f64 v[20:21], v[34:35], -v[44:45]
	v_add_f64 v[18:19], v[42:43], v[30:31]
	v_add_f64 v[22:23], v[42:43], -v[30:31]
	v_fma_f64 v[30:31], v[54:55], -0.5, v[8:9]
	v_add_f64 v[34:35], v[10:11], v[92:93]
	v_fma_f64 v[42:43], v[60:61], -0.5, v[10:11]
	v_add_f64 v[8:9], v[26:27], v[24:25]
	v_add_f64 v[10:11], v[52:53], v[58:59]
	v_add_f64 v[44:45], v[90:91], -v[132:133]
	v_add_f64 v[54:55], v[130:131], -v[134:135]
	;; [unrolled: 1-line block ×4, first 2 shown]
	v_fma_f64 v[52:53], v[56:57], s[0:1], v[50:51]
	v_add_f64 v[58:59], v[28:29], v[132:133]
	v_fma_f64 v[60:61], v[32:33], s[4:5], v[30:31]
	v_fma_f64 v[62:63], v[32:33], s[0:1], v[30:31]
	v_add_f64 v[32:33], v[88:89], v[130:131]
	ds_read_b128 v[28:31], v213 offset:512
	v_add_f64 v[64:65], v[34:35], v[84:85]
	v_fma_f64 v[66:67], v[44:45], s[0:1], v[42:43]
	v_fma_f64 v[68:69], v[44:45], s[4:5], v[42:43]
	v_add_f64 v[42:43], v[46:47], v[86:87]
	v_fma_f64 v[44:45], v[54:55], s[4:5], v[48:49]
	v_fma_f64 v[46:47], v[56:57], s[4:5], v[50:51]
	v_mul_f64 v[50:51], v[52:53], s[4:5]
	v_mul_f64 v[52:53], v[52:53], 0.5
	v_add_f64 v[56:57], v[38:39], v[140:141]
	v_fma_f64 v[48:49], v[54:55], s[0:1], v[48:49]
	v_add_f64 v[54:55], v[32:33], v[134:135]
	ds_read_b128 v[32:35], v213 offset:768
	v_fma_f64 v[50:51], v[44:45], 0.5, v[50:51]
	v_fma_f64 v[52:53], v[44:45], s[0:1], v[52:53]
	s_waitcnt lgkmcnt(1)
	v_add_f64 v[44:45], v[28:29], v[38:39]
	v_fma_f64 v[28:29], v[56:57], -0.5, v[28:29]
	v_fma_f64 v[56:57], v[70:71], -0.5, v[30:31]
	v_mul_f64 v[70:71], v[46:47], s[4:5]
	v_mul_f64 v[46:47], v[46:47], -0.5
	v_add_f64 v[30:31], v[30:31], v[104:105]
	v_add_f64 v[74:75], v[44:45], v[140:141]
	v_add_f64 v[44:45], v[104:105], -v[142:143]
	v_fma_f64 v[70:71], v[48:49], -0.5, v[70:71]
	v_fma_f64 v[72:73], v[48:49], s[0:1], v[46:47]
	v_add_f64 v[46:47], v[138:139], v[40:41]
	v_add_f64 v[76:77], v[30:31], v[142:143]
	v_add_f64 v[30:31], v[38:39], -v[140:141]
	v_add_f64 v[38:39], v[106:107], v[144:145]
	v_add_f64 v[48:49], v[106:107], -v[144:145]
	v_fma_f64 v[92:93], v[44:45], s[4:5], v[28:29]
	v_fma_f64 v[94:95], v[44:45], s[0:1], v[28:29]
	v_add_f64 v[28:29], v[58:59], v[42:43]
	v_add_f64 v[44:45], v[60:61], -v[50:51]
	v_fma_f64 v[46:47], v[46:47], -0.5, v[36:37]
	v_add_f64 v[36:37], v[36:37], v[138:139]
	v_fma_f64 v[104:105], v[30:31], s[4:5], v[56:57]
	v_fma_f64 v[38:39], v[38:39], -0.5, v[136:137]
	v_fma_f64 v[84:85], v[48:49], s[0:1], v[46:47]
	v_fma_f64 v[46:47], v[48:49], s[4:5], v[46:47]
	v_add_f64 v[48:49], v[138:139], -v[40:41]
	v_add_f64 v[90:91], v[36:37], v[40:41]
	v_add_f64 v[36:37], v[58:59], -v[42:43]
	v_add_f64 v[42:43], v[66:67], v[52:53]
	v_add_f64 v[40:41], v[60:61], v[50:51]
	;; [unrolled: 1-line block ×3, first 2 shown]
	v_add_f64 v[60:61], v[74:75], -v[78:79]
	v_mul_f64 v[88:89], v[84:85], s[4:5]
	v_mul_f64 v[84:85], v[84:85], 0.5
	v_fma_f64 v[86:87], v[48:49], s[4:5], v[38:39]
	v_fma_f64 v[38:39], v[48:49], s[0:1], v[38:39]
	v_mul_f64 v[48:49], v[46:47], s[4:5]
	v_mul_f64 v[46:47], v[46:47], -0.5
	v_add_f64 v[58:59], v[76:77], v[90:91]
	v_fma_f64 v[88:89], v[86:87], 0.5, v[88:89]
	v_fma_f64 v[84:85], v[86:87], s[0:1], v[84:85]
	v_fma_f64 v[86:87], v[30:31], s[0:1], v[56:57]
	v_fma_f64 v[106:107], v[38:39], -0.5, v[48:49]
	v_fma_f64 v[112:113], v[38:39], s[0:1], v[46:47]
	v_add_f64 v[46:47], v[66:67], -v[52:53]
	v_add_f64 v[48:49], v[62:63], v[70:71]
	v_add_f64 v[52:53], v[62:63], -v[70:71]
	v_add_f64 v[30:31], v[64:65], v[54:55]
	v_add_f64 v[38:39], v[64:65], -v[54:55]
	v_add_f64 v[54:55], v[68:69], -v[72:73]
	v_add_f64 v[62:63], v[76:77], -v[90:91]
	v_add_f64 v[90:91], v[150:151], -v[158:159]
	v_add_f64 v[56:57], v[74:75], v[78:79]
	v_add_f64 v[64:65], v[92:93], v[88:89]
	v_add_f64 v[68:69], v[92:93], -v[88:89]
	v_add_f64 v[66:67], v[86:87], v[84:85]
	v_add_f64 v[70:71], v[86:87], -v[84:85]
	v_add_f64 v[84:85], v[150:151], v[158:159]
	v_add_f64 v[86:87], v[152:153], v[160:161]
	s_waitcnt lgkmcnt(0)
	v_add_f64 v[88:89], v[32:33], v[150:151]
	v_add_f64 v[92:93], v[156:157], v[164:165]
	;; [unrolled: 1-line block ×4, first 2 shown]
	v_add_f64 v[76:77], v[94:95], -v[106:107]
	v_add_f64 v[78:79], v[104:105], -v[112:113]
	;; [unrolled: 1-line block ×3, first 2 shown]
	v_fma_f64 v[32:33], v[84:85], -0.5, v[32:33]
	v_fma_f64 v[84:85], v[86:87], -0.5, v[34:35]
	v_add_f64 v[86:87], v[152:153], -v[160:161]
	v_add_f64 v[34:35], v[34:35], v[152:153]
	v_add_f64 v[88:89], v[88:89], v[158:159]
	v_fma_f64 v[106:107], v[90:91], s[4:5], v[84:85]
	v_fma_f64 v[94:95], v[86:87], s[4:5], v[32:33]
	;; [unrolled: 1-line block ×3, first 2 shown]
	v_add_f64 v[32:33], v[154:155], v[162:163]
	v_fma_f64 v[86:87], v[90:91], s[0:1], v[84:85]
	v_fma_f64 v[84:85], v[92:93], -0.5, v[148:149]
	v_add_f64 v[90:91], v[154:155], -v[162:163]
	v_add_f64 v[92:93], v[146:147], v[154:155]
	v_add_f64 v[34:35], v[34:35], v[160:161]
	v_fma_f64 v[32:33], v[32:33], -0.5, v[146:147]
	v_fma_f64 v[116:117], v[90:91], s[0:1], v[84:85]
	v_fma_f64 v[84:85], v[90:91], s[4:5], v[84:85]
	v_add_f64 v[90:91], v[82:83], v[100:101]
	v_add_f64 v[92:93], v[92:93], v[162:163]
	v_fma_f64 v[118:119], v[112:113], s[4:5], v[32:33]
	v_fma_f64 v[32:33], v[112:113], s[0:1], v[32:33]
	v_add_f64 v[112:113], v[114:115], v[164:165]
	v_mul_f64 v[114:115], v[116:117], s[4:5]
	v_mul_f64 v[116:117], v[116:117], 0.5
	v_fma_f64 v[114:115], v[118:119], 0.5, v[114:115]
	v_fma_f64 v[116:117], v[118:119], s[0:1], v[116:117]
	v_add_f64 v[118:119], v[0:1], v[82:83]
	v_fma_f64 v[0:1], v[90:91], -0.5, v[0:1]
	v_fma_f64 v[90:91], v[120:121], -0.5, v[2:3]
	v_mul_f64 v[120:121], v[84:85], s[4:5]
	v_mul_f64 v[84:85], v[84:85], -0.5
	v_add_f64 v[2:3], v[2:3], v[96:97]
	v_add_f64 v[118:119], v[118:119], v[100:101]
	v_fma_f64 v[120:121], v[32:33], -0.5, v[120:121]
	v_fma_f64 v[122:123], v[32:33], s[0:1], v[84:85]
	v_add_f64 v[32:33], v[168:169], v[110:111]
	v_add_f64 v[84:85], v[96:97], -v[102:103]
	v_add_f64 v[102:103], v[2:3], v[102:103]
	v_add_f64 v[2:3], v[82:83], -v[100:101]
	;; [unrolled: 2-line block ×3, first 2 shown]
	v_add_f64 v[98:99], v[166:167], v[98:99]
	v_fma_f64 v[32:33], v[32:33], -0.5, v[80:81]
	v_add_f64 v[80:81], v[80:81], v[168:169]
	v_fma_f64 v[126:127], v[84:85], s[4:5], v[0:1]
	v_fma_f64 v[130:131], v[2:3], s[0:1], v[90:91]
	v_fma_f64 v[82:83], v[82:83], -0.5, v[166:167]
	v_fma_f64 v[132:133], v[84:85], s[0:1], v[0:1]
	v_add_f64 v[108:109], v[98:99], v[108:109]
	v_fma_f64 v[134:135], v[2:3], s[4:5], v[90:91]
	v_add_f64 v[0:1], v[88:89], v[92:93]
	v_add_f64 v[2:3], v[34:35], v[112:113]
	;; [unrolled: 1-line block ×3, first 2 shown]
	v_add_f64 v[34:35], v[34:35], -v[112:113]
	v_add_f64 v[84:85], v[94:95], -v[114:115]
	v_fma_f64 v[100:101], v[96:97], s[0:1], v[32:33]
	v_fma_f64 v[32:33], v[96:97], s[4:5], v[32:33]
	v_add_f64 v[96:97], v[168:169], -v[110:111]
	v_add_f64 v[110:111], v[80:81], v[110:111]
	v_add_f64 v[80:81], v[94:95], v[114:115]
	v_add_f64 v[94:95], v[106:107], -v[122:123]
	v_mul_f64 v[124:125], v[100:101], s[4:5]
	v_mul_f64 v[100:101], v[100:101], 0.5
	v_fma_f64 v[98:99], v[96:97], s[4:5], v[82:83]
	v_fma_f64 v[82:83], v[96:97], s[0:1], v[82:83]
	v_mul_f64 v[96:97], v[32:33], s[4:5]
	v_mul_f64 v[32:33], v[32:33], -0.5
	s_mul_i32 s4, s9, 0xffffe600
	s_sub_i32 s4, s4, s8
	v_fma_f64 v[124:125], v[98:99], 0.5, v[124:125]
	v_fma_f64 v[128:129], v[98:99], s[0:1], v[100:101]
	v_fma_f64 v[136:137], v[82:83], -0.5, v[96:97]
	v_fma_f64 v[138:139], v[82:83], s[0:1], v[32:33]
	v_add_f64 v[82:83], v[86:87], v[116:117]
	v_add_f64 v[32:33], v[88:89], -v[92:93]
	v_add_f64 v[88:89], v[104:105], v[120:121]
	v_add_f64 v[86:87], v[86:87], -v[116:117]
	v_add_f64 v[92:93], v[104:105], -v[120:121]
	v_add_f64 v[96:97], v[118:119], v[108:109]
	v_add_f64 v[98:99], v[102:103], v[110:111]
	v_add_f64 v[100:101], v[118:119], -v[108:109]
	v_add_f64 v[102:103], v[102:103], -v[110:111]
	s_mov_b32 s0, 0x11111111
	s_mov_b32 s1, 0x3f611111
	v_add_f64 v[104:105], v[126:127], v[124:125]
	v_add_f64 v[106:107], v[130:131], v[128:129]
	v_add_f64 v[108:109], v[126:127], -v[124:125]
	v_add_f64 v[110:111], v[130:131], -v[128:129]
	v_add_f64 v[112:113], v[132:133], v[136:137]
	v_add_f64 v[114:115], v[134:135], v[138:139]
	v_add_f64 v[116:117], v[132:133], -v[136:137]
	v_add_f64 v[118:119], v[134:135], -v[138:139]
	ds_write_b128 v231, v[4:7]
	ds_write_b128 v213, v[16:19] offset:1280
	ds_write_b128 v213, v[8:11] offset:2560
	ds_write_b128 v213, v[12:15] offset:3840
	ds_write_b128 v213, v[20:23] offset:5120
	ds_write_b128 v213, v[24:27] offset:6400
	ds_write_b128 v213, v[28:31] offset:256
	ds_write_b128 v213, v[40:43] offset:1536
	ds_write_b128 v213, v[48:51] offset:2816
	ds_write_b128 v213, v[36:39] offset:4096
	ds_write_b128 v213, v[44:47] offset:5376
	ds_write_b128 v213, v[52:55] offset:6656
	ds_write_b128 v213, v[56:59] offset:512
	ds_write_b128 v213, v[64:67] offset:1792
	ds_write_b128 v213, v[72:75] offset:3072
	ds_write_b128 v213, v[60:63] offset:4352
	ds_write_b128 v213, v[68:71] offset:5632
	ds_write_b128 v213, v[76:79] offset:6912
	ds_write_b128 v213, v[0:3] offset:768
	ds_write_b128 v213, v[80:83] offset:2048
	ds_write_b128 v213, v[88:91] offset:3328
	ds_write_b128 v213, v[32:35] offset:4608
	ds_write_b128 v213, v[84:87] offset:5888
	ds_write_b128 v213, v[92:95] offset:7168
	ds_write_b128 v213, v[96:99] offset:1024
	ds_write_b128 v213, v[104:107] offset:2304
	ds_write_b128 v213, v[112:115] offset:3584
	ds_write_b128 v213, v[100:103] offset:4864
	ds_write_b128 v213, v[108:111] offset:6144
	ds_write_b128 v213, v[116:119] offset:7424
	s_waitcnt lgkmcnt(0)
	s_barrier
	buffer_gl0_inv
	ds_read_b128 v[4:7], v231
	ds_read_b128 v[8:11], v213 offset:768
	ds_read_b128 v[0:3], v213 offset:256
	s_clause 0x5
	buffer_load_dword v37, off, s[24:27], 0 offset:188
	buffer_load_dword v38, off, s[24:27], 0 offset:192
	;; [unrolled: 1-line block ×6, first 2 shown]
	v_mad_u64_u32 v[32:33], null, s8, v212, 0
	s_waitcnt vmcnt(2) lgkmcnt(2)
	v_mul_f64 v[20:21], v[39:40], v[6:7]
	s_waitcnt vmcnt(1)
	v_mov_b32_e32 v23, v12
	v_mul_f64 v[24:25], v[39:40], v[4:5]
	s_waitcnt vmcnt(0)
	ds_read_b128 v[12:15], v213 offset:512
	s_clause 0x3
	buffer_load_dword v45, off, s[24:27], 0 offset:204
	buffer_load_dword v46, off, s[24:27], 0 offset:208
	;; [unrolled: 1-line block ×4, first 2 shown]
	ds_read_b128 v[16:19], v213 offset:1536
	v_mad_u64_u32 v[26:27], null, s10, v23, 0
	v_mov_b32_e32 v22, v27
	v_mad_u64_u32 v[34:35], null, s11, v23, v[22:23]
	v_fma_f64 v[35:36], v[37:38], v[4:5], v[20:21]
	v_mov_b32_e32 v4, v33
	ds_read_b128 v[20:23], v213 offset:2304
	v_fma_f64 v[37:38], v[37:38], v[6:7], -v[24:25]
	v_mov_b32_e32 v27, v34
	v_mad_u64_u32 v[24:25], null, s9, v212, v[4:5]
	ds_read_b128 v[4:7], v213 offset:1792
	s_clause 0x3
	buffer_load_dword v55, off, s[24:27], 0 offset:156
	buffer_load_dword v56, off, s[24:27], 0 offset:160
	;; [unrolled: 1-line block ×4, first 2 shown]
	v_mov_b32_e32 v33, v24
	v_mul_f64 v[24:25], v[35:36], s[0:1]
	s_waitcnt vmcnt(4) lgkmcnt(5)
	v_mul_f64 v[28:29], v[47:48], v[10:11]
	v_mul_f64 v[30:31], v[47:48], v[8:9]
	v_lshlrev_b64 v[47:48], 4, v[26:27]
	v_mul_f64 v[26:27], v[37:38], s[0:1]
	v_lshlrev_b64 v[36:37], 4, v[32:33]
	v_add_co_u32 v38, vcc_lo, s2, v47
	v_add_co_ci_u32_e32 v47, vcc_lo, s3, v48, vcc_lo
	s_mul_i32 s2, s9, 0x300
	v_add_co_u32 v68, vcc_lo, v38, v36
	v_add_co_ci_u32_e32 v69, vcc_lo, v47, v37, vcc_lo
	s_mul_hi_u32 s3, s8, 0x300
	s_add_i32 s2, s3, s2
	s_mul_i32 s3, s8, 0x300
	v_fma_f64 v[43:44], v[45:46], v[8:9], v[28:29]
	v_fma_f64 v[45:46], v[45:46], v[10:11], -v[30:31]
	ds_read_b128 v[8:11], v213 offset:2048
	v_add_co_u32 v78, vcc_lo, v68, s3
	s_waitcnt vmcnt(0) lgkmcnt(3)
	v_mul_f64 v[39:40], v[57:58], v[18:19]
	v_mul_f64 v[41:42], v[57:58], v[16:17]
	s_clause 0x3
	buffer_load_dword v57, off, s[24:27], 0 offset:172
	buffer_load_dword v58, off, s[24:27], 0 offset:176
	;; [unrolled: 1-line block ×4, first 2 shown]
	ds_read_b128 v[28:31], v213 offset:3072
	ds_read_b128 v[32:35], v213 offset:3840
	v_add_co_ci_u32_e32 v79, vcc_lo, s2, v69, vcc_lo
	v_fma_f64 v[53:54], v[55:56], v[16:17], v[39:40]
	v_fma_f64 v[55:56], v[55:56], v[18:19], -v[41:42]
	v_mul_f64 v[16:17], v[43:44], s[0:1]
	ds_read_b128 v[36:39], v213 offset:4608
	v_mul_f64 v[18:19], v[45:46], s[0:1]
	s_waitcnt vmcnt(0) lgkmcnt(5)
	v_mul_f64 v[49:50], v[59:60], v[22:23]
	v_mul_f64 v[51:52], v[59:60], v[20:21]
	v_fma_f64 v[64:65], v[57:58], v[20:21], v[49:50]
	v_fma_f64 v[66:67], v[57:58], v[22:23], -v[51:52]
	ds_read_b128 v[20:23], v213 offset:5376
	ds_read_b128 v[40:43], v213 offset:3328
	s_clause 0x3
	buffer_load_dword v88, off, s[24:27], 0 offset:44
	buffer_load_dword v89, off, s[24:27], 0 offset:48
	;; [unrolled: 1-line block ×4, first 2 shown]
	ds_read_b128 v[44:47], v213 offset:3584
	v_mul_f64 v[48:49], v[53:54], s[0:1]
	v_mul_f64 v[50:51], v[55:56], s[0:1]
	;; [unrolled: 1-line block ×4, first 2 shown]
	s_waitcnt vmcnt(0) lgkmcnt(5)
	v_mul_f64 v[70:71], v[90:91], v[30:31]
	v_mul_f64 v[72:73], v[90:91], v[28:29]
	s_clause 0x3
	buffer_load_dword v90, off, s[24:27], 0 offset:76
	buffer_load_dword v91, off, s[24:27], 0 offset:80
	;; [unrolled: 1-line block ×4, first 2 shown]
	ds_read_b128 v[52:55], v213 offset:4864
	s_clause 0x3
	buffer_load_dword v96, off, s[24:27], 0 offset:60
	buffer_load_dword v97, off, s[24:27], 0 offset:64
	;; [unrolled: 1-line block ×4, first 2 shown]
	ds_read_b128 v[56:59], v213 offset:6144
	ds_read_b128 v[60:63], v213 offset:5120
	s_clause 0x3
	buffer_load_dword v102, off, s[24:27], 0 offset:140
	buffer_load_dword v103, off, s[24:27], 0 offset:144
	;; [unrolled: 1-line block ×4, first 2 shown]
	v_fma_f64 v[70:71], v[88:89], v[28:29], v[70:71]
	v_fma_f64 v[72:73], v[88:89], v[30:31], -v[72:73]
	ds_read_b128 v[28:31], v213 offset:6400
	v_add_co_u32 v88, vcc_lo, v78, s3
	v_add_co_ci_u32_e32 v89, vcc_lo, s2, v79, vcc_lo
	s_waitcnt vmcnt(8) lgkmcnt(8)
	v_mul_f64 v[74:75], v[92:93], v[34:35]
	v_mul_f64 v[76:77], v[92:93], v[32:33]
	s_waitcnt vmcnt(4) lgkmcnt(7)
	v_mul_f64 v[80:81], v[98:99], v[38:39]
	v_mul_f64 v[82:83], v[98:99], v[36:37]
	s_clause 0x3
	buffer_load_dword v98, off, s[24:27], 0 offset:108
	buffer_load_dword v99, off, s[24:27], 0 offset:112
	buffer_load_dword v100, off, s[24:27], 0 offset:116
	buffer_load_dword v101, off, s[24:27], 0 offset:120
	s_waitcnt vmcnt(4) lgkmcnt(6)
	v_mul_f64 v[84:85], v[104:105], v[22:23]
	v_mul_f64 v[86:87], v[104:105], v[20:21]
	v_fma_f64 v[74:75], v[90:91], v[32:33], v[74:75]
	v_fma_f64 v[76:77], v[90:91], v[34:35], -v[76:77]
	v_add_co_u32 v90, vcc_lo, v88, s3
	v_add_co_ci_u32_e32 v91, vcc_lo, s2, v89, vcc_lo
	ds_read_b128 v[32:35], v213 offset:6912
	global_store_dwordx4 v[68:69], v[24:27], off
	global_store_dwordx4 v[78:79], v[16:19], off
	;; [unrolled: 1-line block ×4, first 2 shown]
	v_add_co_u32 v68, vcc_lo, v90, s3
	v_fma_f64 v[80:81], v[96:97], v[36:37], v[80:81]
	v_fma_f64 v[82:83], v[96:97], v[38:39], -v[82:83]
	v_fma_f64 v[84:85], v[102:103], v[20:21], v[84:85]
	v_fma_f64 v[86:87], v[102:103], v[22:23], -v[86:87]
	ds_read_b128 v[20:23], v213 offset:1024
	ds_read_b128 v[36:39], v213 offset:6656
	v_add_co_ci_u32_e32 v69, vcc_lo, s2, v91, vcc_lo
	s_clause 0x3
	buffer_load_dword v88, off, s[24:27], 0 offset:92
	buffer_load_dword v89, off, s[24:27], 0 offset:96
	;; [unrolled: 1-line block ×4, first 2 shown]
	v_mul_f64 v[16:17], v[70:71], s[0:1]
	v_mul_f64 v[18:19], v[72:73], s[0:1]
	;; [unrolled: 1-line block ×6, first 2 shown]
	s_waitcnt vmcnt(4) lgkmcnt(5)
	v_mul_f64 v[92:93], v[100:101], v[58:59]
	v_mul_f64 v[94:95], v[100:101], v[56:57]
	v_fma_f64 v[74:75], v[98:99], v[56:57], v[92:93]
	v_fma_f64 v[76:77], v[98:99], v[58:59], -v[94:95]
	v_mul_f64 v[56:57], v[84:85], s[0:1]
	v_mul_f64 v[58:59], v[86:87], s[0:1]
	v_add_co_u32 v86, vcc_lo, v68, s3
	v_add_co_ci_u32_e32 v87, vcc_lo, s2, v69, vcc_lo
	s_waitcnt vmcnt(0) lgkmcnt(2)
	v_mul_f64 v[70:71], v[90:91], v[34:35]
	v_mul_f64 v[72:73], v[90:91], v[32:33]
	s_clause 0x3
	buffer_load_dword v90, off, s[24:27], 0 offset:124
	buffer_load_dword v91, off, s[24:27], 0 offset:128
	;; [unrolled: 1-line block ×4, first 2 shown]
	ds_read_b128 v[64:67], v213 offset:1280
	v_fma_f64 v[70:71], v[88:89], v[32:33], v[70:71]
	v_fma_f64 v[72:73], v[88:89], v[34:35], -v[72:73]
	s_waitcnt vmcnt(0)
	v_mul_f64 v[78:79], v[92:93], v[2:3]
	v_mul_f64 v[80:81], v[92:93], v[0:1]
	s_clause 0x3
	buffer_load_dword v92, off, s[24:27], 0 offset:412
	buffer_load_dword v93, off, s[24:27], 0 offset:416
	;; [unrolled: 1-line block ×4, first 2 shown]
	global_store_dwordx4 v[68:69], v[16:19], off
	v_add_co_u32 v68, vcc_lo, v86, s3
	v_add_co_ci_u32_e32 v69, vcc_lo, s2, v87, vcc_lo
	v_mul_f64 v[16:17], v[74:75], s[0:1]
	v_add_co_u32 v74, vcc_lo, v68, s3
	v_add_co_ci_u32_e32 v75, vcc_lo, s2, v69, vcc_lo
	v_mul_f64 v[18:19], v[76:77], s[0:1]
	ds_read_b128 v[32:35], v213 offset:2560
	global_store_dwordx4 v[86:87], v[24:27], off
	global_store_dwordx4 v[68:69], v[48:51], off
	;; [unrolled: 1-line block ×3, first 2 shown]
	v_add_co_u32 v68, vcc_lo, v74, s3
	v_add_co_ci_u32_e32 v69, vcc_lo, s2, v75, vcc_lo
	v_fma_f64 v[24:25], v[90:91], v[0:1], v[78:79]
	s_clause 0x3
	buffer_load_dword v76, off, s[24:27], 0 offset:348
	buffer_load_dword v77, off, s[24:27], 0 offset:352
	;; [unrolled: 1-line block ×4, first 2 shown]
	v_fma_f64 v[26:27], v[90:91], v[2:3], -v[80:81]
	v_mul_f64 v[0:1], v[70:71], s[0:1]
	v_mul_f64 v[2:3], v[72:73], s[0:1]
	;; [unrolled: 1-line block ×4, first 2 shown]
	s_waitcnt vmcnt(4) lgkmcnt(3)
	v_mul_f64 v[82:83], v[94:95], v[22:23]
	v_mul_f64 v[84:85], v[94:95], v[20:21]
	s_waitcnt vmcnt(0)
	v_mul_f64 v[56:57], v[78:79], v[6:7]
	v_fma_f64 v[48:49], v[92:93], v[20:21], v[82:83]
	v_fma_f64 v[50:51], v[92:93], v[22:23], -v[84:85]
	ds_read_b128 v[20:23], v213 offset:2816
	s_clause 0x3
	buffer_load_dword v84, off, s[24:27], 0 offset:316
	buffer_load_dword v85, off, s[24:27], 0 offset:320
	;; [unrolled: 1-line block ×4, first 2 shown]
	global_store_dwordx4 v[68:69], v[16:19], off
	ds_read_b128 v[16:19], v213 offset:4096
	s_clause 0x3
	buffer_load_dword v88, off, s[24:27], 0 offset:364
	buffer_load_dword v89, off, s[24:27], 0 offset:368
	;; [unrolled: 1-line block ×4, first 2 shown]
	v_mul_f64 v[58:59], v[78:79], v[4:5]
	v_add_co_u32 v68, vcc_lo, v68, s3
	v_add_co_ci_u32_e32 v69, vcc_lo, s2, v69, vcc_lo
	global_store_dwordx4 v[68:69], v[0:3], off
	ds_read_b128 v[0:3], v213 offset:4352
	v_mad_u64_u32 v[74:75], null, 0xffffe600, s8, v[68:69]
	v_fma_f64 v[56:57], v[76:77], v[4:5], v[56:57]
	v_mul_f64 v[48:49], v[48:49], s[0:1]
	v_mul_f64 v[50:51], v[50:51], s[0:1]
	v_add_nc_u32_e32 v75, s4, v75
	v_add_co_u32 v82, vcc_lo, v74, s3
	v_fma_f64 v[58:59], v[76:77], v[6:7], -v[58:59]
	v_add_co_ci_u32_e32 v83, vcc_lo, s2, v75, vcc_lo
	s_waitcnt vmcnt(4) lgkmcnt(3)
	v_mul_f64 v[70:71], v[86:87], v[34:35]
	v_mul_f64 v[72:73], v[86:87], v[32:33]
	s_waitcnt vmcnt(0)
	v_mul_f64 v[76:77], v[90:91], v[42:43]
	v_mul_f64 v[78:79], v[90:91], v[40:41]
	s_clause 0x3
	buffer_load_dword v90, off, s[24:27], 0 offset:396
	buffer_load_dword v91, off, s[24:27], 0 offset:400
	;; [unrolled: 1-line block ×4, first 2 shown]
	ds_read_b128 v[4:7], v213 offset:5632
	v_fma_f64 v[68:69], v[84:85], v[32:33], v[70:71]
	v_fma_f64 v[72:73], v[84:85], v[34:35], -v[72:73]
	s_waitcnt vmcnt(0) lgkmcnt(2)
	v_mul_f64 v[70:71], v[92:93], v[18:19]
	v_mul_f64 v[80:81], v[92:93], v[16:17]
	s_clause 0x3
	buffer_load_dword v92, off, s[24:27], 0 offset:444
	buffer_load_dword v93, off, s[24:27], 0 offset:448
	;; [unrolled: 1-line block ×4, first 2 shown]
	global_store_dwordx4 v[74:75], v[24:27], off
	global_store_dwordx4 v[82:83], v[48:51], off
	ds_read_b128 v[32:35], v213 offset:7168
	ds_read_b128 v[48:51], v213 offset:5888
	v_mul_f64 v[24:25], v[56:57], s[0:1]
	v_fma_f64 v[56:57], v[88:89], v[40:41], v[76:77]
	v_mul_f64 v[40:41], v[68:69], s[0:1]
	v_add_co_u32 v74, vcc_lo, v82, s3
	v_mul_f64 v[26:27], v[58:59], s[0:1]
	v_fma_f64 v[58:59], v[88:89], v[42:43], -v[78:79]
	v_add_co_ci_u32_e32 v75, vcc_lo, s2, v83, vcc_lo
	v_mul_f64 v[42:43], v[72:73], s[0:1]
	v_fma_f64 v[70:71], v[90:91], v[16:17], v[70:71]
	v_fma_f64 v[78:79], v[90:91], v[18:19], -v[80:81]
	v_add_co_u32 v90, vcc_lo, v74, s3
	v_add_co_ci_u32_e32 v91, vcc_lo, s2, v75, vcc_lo
	s_waitcnt vmcnt(0)
	v_mul_f64 v[84:85], v[94:95], v[54:55]
	v_mul_f64 v[86:87], v[94:95], v[52:53]
	s_clause 0x3
	buffer_load_dword v94, off, s[24:27], 0 offset:252
	buffer_load_dword v95, off, s[24:27], 0 offset:256
	;; [unrolled: 1-line block ×4, first 2 shown]
	v_fma_f64 v[72:73], v[92:93], v[52:53], v[84:85]
	v_fma_f64 v[84:85], v[92:93], v[54:55], -v[86:87]
	v_mul_f64 v[52:53], v[56:57], s[0:1]
	v_mul_f64 v[54:55], v[58:59], s[0:1]
	v_add_co_u32 v92, vcc_lo, v90, s3
	v_add_co_ci_u32_e32 v93, vcc_lo, s2, v91, vcc_lo
	s_waitcnt vmcnt(0) lgkmcnt(2)
	v_mul_f64 v[68:69], v[96:97], v[6:7]
	v_mul_f64 v[76:77], v[96:97], v[4:5]
	s_clause 0x3
	buffer_load_dword v96, off, s[24:27], 0 offset:300
	buffer_load_dword v97, off, s[24:27], 0 offset:304
	;; [unrolled: 1-line block ×4, first 2 shown]
	ds_read_b128 v[16:19], v213 offset:7424
	v_fma_f64 v[56:57], v[94:95], v[4:5], v[68:69]
	v_fma_f64 v[58:59], v[94:95], v[6:7], -v[76:77]
	v_mul_f64 v[6:7], v[78:79], s[0:1]
	v_mul_f64 v[4:5], v[70:71], s[0:1]
	v_add_co_u32 v76, vcc_lo, v92, s3
	v_add_co_ci_u32_e32 v77, vcc_lo, s2, v93, vcc_lo
	s_waitcnt vmcnt(0)
	v_mul_f64 v[80:81], v[98:99], v[30:31]
	v_mul_f64 v[82:83], v[98:99], v[28:29]
	s_clause 0x3
	buffer_load_dword v98, off, s[24:27], 0 offset:380
	buffer_load_dword v99, off, s[24:27], 0 offset:384
	;; [unrolled: 1-line block ×4, first 2 shown]
	v_fma_f64 v[68:69], v[96:97], v[28:29], v[80:81]
	v_mul_f64 v[28:29], v[72:73], s[0:1]
	v_fma_f64 v[70:71], v[96:97], v[30:31], -v[82:83]
	v_mul_f64 v[30:31], v[84:85], s[0:1]
	s_waitcnt vmcnt(0) lgkmcnt(2)
	v_mul_f64 v[86:87], v[100:101], v[34:35]
	v_mul_f64 v[88:89], v[100:101], v[32:33]
	v_fma_f64 v[72:73], v[98:99], v[32:33], v[86:87]
	v_fma_f64 v[78:79], v[98:99], v[34:35], -v[88:89]
	s_clause 0x3
	buffer_load_dword v98, off, s[24:27], 0 offset:284
	buffer_load_dword v99, off, s[24:27], 0 offset:288
	;; [unrolled: 1-line block ×4, first 2 shown]
	v_mul_f64 v[32:33], v[56:57], s[0:1]
	v_mul_f64 v[34:35], v[58:59], s[0:1]
	;; [unrolled: 1-line block ×4, first 2 shown]
	v_add_co_u32 v88, vcc_lo, v76, s3
	v_add_co_ci_u32_e32 v89, vcc_lo, s2, v77, vcc_lo
	v_add_co_u32 v94, vcc_lo, v88, s3
	v_add_co_ci_u32_e32 v95, vcc_lo, s2, v89, vcc_lo
	;; [unrolled: 2-line block ×3, first 2 shown]
	v_mul_f64 v[68:69], v[72:73], s[0:1]
	v_mul_f64 v[70:71], v[78:79], s[0:1]
	s_waitcnt vmcnt(0)
	v_mul_f64 v[80:81], v[100:101], v[14:15]
	v_mul_f64 v[82:83], v[100:101], v[12:13]
	s_clause 0x3
	buffer_load_dword v100, off, s[24:27], 0 offset:332
	buffer_load_dword v101, off, s[24:27], 0 offset:336
	;; [unrolled: 1-line block ×4, first 2 shown]
	v_fma_f64 v[12:13], v[98:99], v[12:13], v[80:81]
	v_fma_f64 v[14:15], v[98:99], v[14:15], -v[82:83]
	v_add_co_u32 v80, vcc_lo, v96, s3
	v_add_co_ci_u32_e32 v81, vcc_lo, s2, v97, vcc_lo
	s_waitcnt vmcnt(0)
	v_mul_f64 v[84:85], v[102:103], v[66:67]
	v_mul_f64 v[86:87], v[102:103], v[64:65]
	v_fma_f64 v[64:65], v[100:101], v[64:65], v[84:85]
	s_clause 0x3
	buffer_load_dword v82, off, s[24:27], 0 offset:236
	buffer_load_dword v83, off, s[24:27], 0 offset:240
	;; [unrolled: 1-line block ×4, first 2 shown]
	global_store_dwordx4 v[74:75], v[24:27], off
	global_store_dwordx4 v[90:91], v[40:43], off
	;; [unrolled: 1-line block ×3, first 2 shown]
	s_clause 0x3
	buffer_load_dword v52, off, s[24:27], 0 offset:268
	buffer_load_dword v53, off, s[24:27], 0 offset:272
	buffer_load_dword v54, off, s[24:27], 0 offset:276
	buffer_load_dword v55, off, s[24:27], 0 offset:280
	global_store_dwordx4 v[76:77], v[4:7], off
	global_store_dwordx4 v[88:89], v[28:31], off
	;; [unrolled: 1-line block ×5, first 2 shown]
	s_clause 0x3
	buffer_load_dword v68, off, s[24:27], 0 offset:220
	buffer_load_dword v69, off, s[24:27], 0 offset:224
	;; [unrolled: 1-line block ×4, first 2 shown]
	v_mad_u64_u32 v[24:25], null, 0xffffe600, s8, v[80:81]
	v_fma_f64 v[66:67], v[100:101], v[66:67], -v[86:87]
	v_mul_f64 v[4:5], v[12:13], s[0:1]
	v_mul_f64 v[6:7], v[14:15], s[0:1]
	v_add_nc_u32_e32 v25, s4, v25
	v_add_co_u32 v32, vcc_lo, v24, s3
	v_add_co_ci_u32_e32 v33, vcc_lo, s2, v25, vcc_lo
	v_mul_f64 v[12:13], v[64:65], s[0:1]
	v_mul_f64 v[14:15], v[66:67], s[0:1]
	s_waitcnt vmcnt(8)
	v_mul_f64 v[72:73], v[84:85], v[10:11]
	v_mul_f64 v[78:79], v[84:85], v[8:9]
	s_waitcnt vmcnt(4)
	;; [unrolled: 3-line block ×3, first 2 shown]
	v_mul_f64 v[28:29], v[70:71], v[46:47]
	v_mul_f64 v[30:31], v[70:71], v[44:45]
	v_fma_f64 v[8:9], v[82:83], v[8:9], v[72:73]
	s_clause 0x3
	buffer_load_dword v70, off, s[24:27], 0 offset:428
	buffer_load_dword v71, off, s[24:27], 0 offset:432
	;; [unrolled: 1-line block ×4, first 2 shown]
	v_fma_f64 v[20:21], v[52:53], v[20:21], v[26:27]
	v_fma_f64 v[22:23], v[52:53], v[22:23], -v[40:41]
	v_fma_f64 v[10:11], v[82:83], v[10:11], -v[78:79]
	s_waitcnt vmcnt(0)
	v_mul_f64 v[34:35], v[72:73], v[2:3]
	v_mul_f64 v[42:43], v[72:73], v[0:1]
	s_clause 0x3
	buffer_load_dword v72, off, s[24:27], 0 offset:460
	buffer_load_dword v73, off, s[24:27], 0 offset:464
	;; [unrolled: 1-line block ×4, first 2 shown]
	s_waitcnt vmcnt(0)
	v_mul_f64 v[26:27], v[74:75], v[62:63]
	v_mul_f64 v[40:41], v[74:75], v[60:61]
	s_clause 0x3
	buffer_load_dword v74, off, s[24:27], 0 offset:476
	buffer_load_dword v75, off, s[24:27], 0 offset:480
	buffer_load_dword v76, off, s[24:27], 0 offset:484
	buffer_load_dword v77, off, s[24:27], 0 offset:488
	s_waitcnt vmcnt(0) lgkmcnt(1)
	v_mul_f64 v[52:53], v[76:77], v[50:51]
	v_mul_f64 v[54:55], v[76:77], v[48:49]
	s_clause 0x3
	buffer_load_dword v76, off, s[24:27], 0 offset:492
	buffer_load_dword v77, off, s[24:27], 0 offset:496
	buffer_load_dword v78, off, s[24:27], 0 offset:500
	buffer_load_dword v79, off, s[24:27], 0 offset:504
	s_waitcnt vmcnt(0)
	v_mul_f64 v[56:57], v[78:79], v[38:39]
	v_mul_f64 v[58:59], v[78:79], v[36:37]
	s_clause 0x3
	buffer_load_dword v78, off, s[24:27], 0 offset:508
	buffer_load_dword v79, off, s[24:27], 0 offset:512
	;; [unrolled: 1-line block ×4, first 2 shown]
	global_store_dwordx4 v[24:25], v[4:7], off
	global_store_dwordx4 v[32:33], v[12:15], off
	v_mul_f64 v[4:5], v[8:9], s[0:1]
	v_mul_f64 v[6:7], v[10:11], s[0:1]
	v_fma_f64 v[8:9], v[68:69], v[44:45], v[28:29]
	v_fma_f64 v[10:11], v[68:69], v[46:47], -v[30:31]
	v_fma_f64 v[12:13], v[70:71], v[0:1], v[34:35]
	v_fma_f64 v[14:15], v[70:71], v[2:3], -v[42:43]
	v_mul_f64 v[0:1], v[20:21], s[0:1]
	v_mul_f64 v[2:3], v[22:23], s[0:1]
	v_fma_f64 v[20:21], v[72:73], v[60:61], v[26:27]
	v_fma_f64 v[22:23], v[72:73], v[62:63], -v[40:41]
	v_fma_f64 v[24:25], v[74:75], v[48:49], v[52:53]
	v_fma_f64 v[26:27], v[74:75], v[50:51], -v[54:55]
	v_add_co_u32 v32, vcc_lo, v32, s3
	v_add_co_ci_u32_e32 v33, vcc_lo, s2, v33, vcc_lo
	v_fma_f64 v[28:29], v[76:77], v[36:37], v[56:57]
	v_fma_f64 v[30:31], v[76:77], v[38:39], -v[58:59]
	v_add_co_u32 v38, vcc_lo, v32, s3
	v_add_co_ci_u32_e32 v39, vcc_lo, s2, v33, vcc_lo
	v_mul_f64 v[8:9], v[8:9], s[0:1]
	v_add_co_u32 v40, vcc_lo, v38, s3
	v_add_co_ci_u32_e32 v41, vcc_lo, s2, v39, vcc_lo
	v_mul_f64 v[10:11], v[10:11], s[0:1]
	v_add_co_u32 v42, vcc_lo, v40, s3
	v_mul_f64 v[12:13], v[12:13], s[0:1]
	v_mul_f64 v[14:15], v[14:15], s[0:1]
	v_add_co_ci_u32_e32 v43, vcc_lo, s2, v41, vcc_lo
	global_store_dwordx4 v[32:33], v[4:7], off
	global_store_dwordx4 v[38:39], v[0:3], off
	;; [unrolled: 1-line block ×3, first 2 shown]
	s_waitcnt vmcnt(0) lgkmcnt(0)
	v_mul_f64 v[64:65], v[80:81], v[18:19]
	v_mul_f64 v[66:67], v[80:81], v[16:17]
	v_fma_f64 v[34:35], v[78:79], v[16:17], v[64:65]
	v_fma_f64 v[36:37], v[78:79], v[18:19], -v[66:67]
	v_mul_f64 v[16:17], v[20:21], s[0:1]
	v_mul_f64 v[18:19], v[22:23], s[0:1]
	;; [unrolled: 1-line block ×8, first 2 shown]
	v_add_co_u32 v34, vcc_lo, v42, s3
	v_add_co_ci_u32_e32 v35, vcc_lo, s2, v43, vcc_lo
	v_add_co_u32 v4, vcc_lo, v34, s3
	v_add_co_ci_u32_e32 v5, vcc_lo, s2, v35, vcc_lo
	;; [unrolled: 2-line block ×4, first 2 shown]
	global_store_dwordx4 v[42:43], v[12:15], off
	global_store_dwordx4 v[34:35], v[16:19], off
	;; [unrolled: 1-line block ×5, first 2 shown]
.LBB0_10:
	s_endpgm
	.section	.rodata,"a",@progbits
	.p2align	6, 0x0
	.amdhsa_kernel bluestein_single_fwd_len480_dim1_dp_op_CI_CI
		.amdhsa_group_segment_fixed_size 30720
		.amdhsa_private_segment_fixed_size 1084
		.amdhsa_kernarg_size 104
		.amdhsa_user_sgpr_count 6
		.amdhsa_user_sgpr_private_segment_buffer 1
		.amdhsa_user_sgpr_dispatch_ptr 0
		.amdhsa_user_sgpr_queue_ptr 0
		.amdhsa_user_sgpr_kernarg_segment_ptr 1
		.amdhsa_user_sgpr_dispatch_id 0
		.amdhsa_user_sgpr_flat_scratch_init 0
		.amdhsa_user_sgpr_private_segment_size 0
		.amdhsa_wavefront_size32 1
		.amdhsa_uses_dynamic_stack 0
		.amdhsa_system_sgpr_private_segment_wavefront_offset 1
		.amdhsa_system_sgpr_workgroup_id_x 1
		.amdhsa_system_sgpr_workgroup_id_y 0
		.amdhsa_system_sgpr_workgroup_id_z 0
		.amdhsa_system_sgpr_workgroup_info 0
		.amdhsa_system_vgpr_workitem_id 0
		.amdhsa_next_free_vgpr 256
		.amdhsa_next_free_sgpr 28
		.amdhsa_reserve_vcc 1
		.amdhsa_reserve_flat_scratch 0
		.amdhsa_float_round_mode_32 0
		.amdhsa_float_round_mode_16_64 0
		.amdhsa_float_denorm_mode_32 3
		.amdhsa_float_denorm_mode_16_64 3
		.amdhsa_dx10_clamp 1
		.amdhsa_ieee_mode 1
		.amdhsa_fp16_overflow 0
		.amdhsa_workgroup_processor_mode 1
		.amdhsa_memory_ordered 1
		.amdhsa_forward_progress 0
		.amdhsa_shared_vgpr_count 0
		.amdhsa_exception_fp_ieee_invalid_op 0
		.amdhsa_exception_fp_denorm_src 0
		.amdhsa_exception_fp_ieee_div_zero 0
		.amdhsa_exception_fp_ieee_overflow 0
		.amdhsa_exception_fp_ieee_underflow 0
		.amdhsa_exception_fp_ieee_inexact 0
		.amdhsa_exception_int_div_zero 0
	.end_amdhsa_kernel
	.text
.Lfunc_end0:
	.size	bluestein_single_fwd_len480_dim1_dp_op_CI_CI, .Lfunc_end0-bluestein_single_fwd_len480_dim1_dp_op_CI_CI
                                        ; -- End function
	.section	.AMDGPU.csdata,"",@progbits
; Kernel info:
; codeLenInByte = 34468
; NumSgprs: 30
; NumVgprs: 256
; ScratchSize: 1084
; MemoryBound: 0
; FloatMode: 240
; IeeeMode: 1
; LDSByteSize: 30720 bytes/workgroup (compile time only)
; SGPRBlocks: 3
; VGPRBlocks: 31
; NumSGPRsForWavesPerEU: 30
; NumVGPRsForWavesPerEU: 256
; Occupancy: 2
; WaveLimiterHint : 1
; COMPUTE_PGM_RSRC2:SCRATCH_EN: 1
; COMPUTE_PGM_RSRC2:USER_SGPR: 6
; COMPUTE_PGM_RSRC2:TRAP_HANDLER: 0
; COMPUTE_PGM_RSRC2:TGID_X_EN: 1
; COMPUTE_PGM_RSRC2:TGID_Y_EN: 0
; COMPUTE_PGM_RSRC2:TGID_Z_EN: 0
; COMPUTE_PGM_RSRC2:TIDIG_COMP_CNT: 0
	.text
	.p2alignl 6, 3214868480
	.fill 48, 4, 3214868480
	.type	__hip_cuid_8aecafedf2ceff9c,@object ; @__hip_cuid_8aecafedf2ceff9c
	.section	.bss,"aw",@nobits
	.globl	__hip_cuid_8aecafedf2ceff9c
__hip_cuid_8aecafedf2ceff9c:
	.byte	0                               ; 0x0
	.size	__hip_cuid_8aecafedf2ceff9c, 1

	.ident	"AMD clang version 19.0.0git (https://github.com/RadeonOpenCompute/llvm-project roc-6.4.0 25133 c7fe45cf4b819c5991fe208aaa96edf142730f1d)"
	.section	".note.GNU-stack","",@progbits
	.addrsig
	.addrsig_sym __hip_cuid_8aecafedf2ceff9c
	.amdgpu_metadata
---
amdhsa.kernels:
  - .args:
      - .actual_access:  read_only
        .address_space:  global
        .offset:         0
        .size:           8
        .value_kind:     global_buffer
      - .actual_access:  read_only
        .address_space:  global
        .offset:         8
        .size:           8
        .value_kind:     global_buffer
      - .actual_access:  read_only
        .address_space:  global
        .offset:         16
        .size:           8
        .value_kind:     global_buffer
      - .actual_access:  read_only
        .address_space:  global
        .offset:         24
        .size:           8
        .value_kind:     global_buffer
      - .actual_access:  read_only
        .address_space:  global
        .offset:         32
        .size:           8
        .value_kind:     global_buffer
      - .offset:         40
        .size:           8
        .value_kind:     by_value
      - .address_space:  global
        .offset:         48
        .size:           8
        .value_kind:     global_buffer
      - .address_space:  global
        .offset:         56
        .size:           8
        .value_kind:     global_buffer
      - .address_space:  global
        .offset:         64
        .size:           8
        .value_kind:     global_buffer
      - .address_space:  global
        .offset:         72
        .size:           8
        .value_kind:     global_buffer
      - .offset:         80
        .size:           4
        .value_kind:     by_value
      - .address_space:  global
        .offset:         88
        .size:           8
        .value_kind:     global_buffer
      - .address_space:  global
        .offset:         96
        .size:           8
        .value_kind:     global_buffer
    .group_segment_fixed_size: 30720
    .kernarg_segment_align: 8
    .kernarg_segment_size: 104
    .language:       OpenCL C
    .language_version:
      - 2
      - 0
    .max_flat_workgroup_size: 64
    .name:           bluestein_single_fwd_len480_dim1_dp_op_CI_CI
    .private_segment_fixed_size: 1084
    .sgpr_count:     30
    .sgpr_spill_count: 0
    .symbol:         bluestein_single_fwd_len480_dim1_dp_op_CI_CI.kd
    .uniform_work_group_size: 1
    .uses_dynamic_stack: false
    .vgpr_count:     256
    .vgpr_spill_count: 278
    .wavefront_size: 32
    .workgroup_processor_mode: 1
amdhsa.target:   amdgcn-amd-amdhsa--gfx1030
amdhsa.version:
  - 1
  - 2
...

	.end_amdgpu_metadata
